;; amdgpu-corpus repo=ROCm/rocFFT kind=compiled arch=gfx906 opt=O3
	.text
	.amdgcn_target "amdgcn-amd-amdhsa--gfx906"
	.amdhsa_code_object_version 6
	.protected	fft_rtc_back_len1377_factors_17_3_9_3_wgs_51_tpt_51_halfLds_half_ip_CI_sbrr_dirReg ; -- Begin function fft_rtc_back_len1377_factors_17_3_9_3_wgs_51_tpt_51_halfLds_half_ip_CI_sbrr_dirReg
	.globl	fft_rtc_back_len1377_factors_17_3_9_3_wgs_51_tpt_51_halfLds_half_ip_CI_sbrr_dirReg
	.p2align	8
	.type	fft_rtc_back_len1377_factors_17_3_9_3_wgs_51_tpt_51_halfLds_half_ip_CI_sbrr_dirReg,@function
fft_rtc_back_len1377_factors_17_3_9_3_wgs_51_tpt_51_halfLds_half_ip_CI_sbrr_dirReg: ; @fft_rtc_back_len1377_factors_17_3_9_3_wgs_51_tpt_51_halfLds_half_ip_CI_sbrr_dirReg
; %bb.0:
	s_load_dwordx2 s[14:15], s[4:5], 0x18
	s_load_dwordx4 s[8:11], s[4:5], 0x0
	s_load_dwordx2 s[12:13], s[4:5], 0x50
	v_mul_u32_u24_e32 v1, 0x506, v0
	v_add_u32_sdwa v5, s6, v1 dst_sel:DWORD dst_unused:UNUSED_PAD src0_sel:DWORD src1_sel:WORD_1
	s_waitcnt lgkmcnt(0)
	s_load_dwordx2 s[2:3], s[14:15], 0x0
	v_cmp_lt_u64_e64 s[0:1], s[10:11], 2
	v_mov_b32_e32 v3, 0
	v_mov_b32_e32 v1, 0
	;; [unrolled: 1-line block ×3, first 2 shown]
	s_and_b64 vcc, exec, s[0:1]
	v_mov_b32_e32 v2, 0
	s_cbranch_vccnz .LBB0_8
; %bb.1:
	s_load_dwordx2 s[0:1], s[4:5], 0x10
	s_add_u32 s6, s14, 8
	s_addc_u32 s7, s15, 0
	v_mov_b32_e32 v1, 0
	v_mov_b32_e32 v2, 0
	s_waitcnt lgkmcnt(0)
	s_add_u32 s16, s0, 8
	s_addc_u32 s17, s1, 0
	s_mov_b64 s[18:19], 1
.LBB0_2:                                ; =>This Inner Loop Header: Depth=1
	s_load_dwordx2 s[20:21], s[16:17], 0x0
                                        ; implicit-def: $vgpr7_vgpr8
	s_waitcnt lgkmcnt(0)
	v_or_b32_e32 v4, s21, v6
	v_cmp_ne_u64_e32 vcc, 0, v[3:4]
	s_and_saveexec_b64 s[0:1], vcc
	s_xor_b64 s[22:23], exec, s[0:1]
	s_cbranch_execz .LBB0_4
; %bb.3:                                ;   in Loop: Header=BB0_2 Depth=1
	v_cvt_f32_u32_e32 v4, s20
	v_cvt_f32_u32_e32 v7, s21
	s_sub_u32 s0, 0, s20
	s_subb_u32 s1, 0, s21
	v_mac_f32_e32 v4, 0x4f800000, v7
	v_rcp_f32_e32 v4, v4
	v_mul_f32_e32 v4, 0x5f7ffffc, v4
	v_mul_f32_e32 v7, 0x2f800000, v4
	v_trunc_f32_e32 v7, v7
	v_mac_f32_e32 v4, 0xcf800000, v7
	v_cvt_u32_f32_e32 v7, v7
	v_cvt_u32_f32_e32 v4, v4
	v_mul_lo_u32 v8, s0, v7
	v_mul_hi_u32 v9, s0, v4
	v_mul_lo_u32 v11, s1, v4
	v_mul_lo_u32 v10, s0, v4
	v_add_u32_e32 v8, v9, v8
	v_add_u32_e32 v8, v8, v11
	v_mul_hi_u32 v9, v4, v10
	v_mul_lo_u32 v11, v4, v8
	v_mul_hi_u32 v13, v4, v8
	v_mul_hi_u32 v12, v7, v10
	v_mul_lo_u32 v10, v7, v10
	v_mul_hi_u32 v14, v7, v8
	v_add_co_u32_e32 v9, vcc, v9, v11
	v_addc_co_u32_e32 v11, vcc, 0, v13, vcc
	v_mul_lo_u32 v8, v7, v8
	v_add_co_u32_e32 v9, vcc, v9, v10
	v_addc_co_u32_e32 v9, vcc, v11, v12, vcc
	v_addc_co_u32_e32 v10, vcc, 0, v14, vcc
	v_add_co_u32_e32 v8, vcc, v9, v8
	v_addc_co_u32_e32 v9, vcc, 0, v10, vcc
	v_add_co_u32_e32 v4, vcc, v4, v8
	v_addc_co_u32_e32 v7, vcc, v7, v9, vcc
	v_mul_lo_u32 v8, s0, v7
	v_mul_hi_u32 v9, s0, v4
	v_mul_lo_u32 v10, s1, v4
	v_mul_lo_u32 v11, s0, v4
	v_add_u32_e32 v8, v9, v8
	v_add_u32_e32 v8, v8, v10
	v_mul_lo_u32 v12, v4, v8
	v_mul_hi_u32 v13, v4, v11
	v_mul_hi_u32 v14, v4, v8
	;; [unrolled: 1-line block ×3, first 2 shown]
	v_mul_lo_u32 v11, v7, v11
	v_mul_hi_u32 v9, v7, v8
	v_add_co_u32_e32 v12, vcc, v13, v12
	v_addc_co_u32_e32 v13, vcc, 0, v14, vcc
	v_mul_lo_u32 v8, v7, v8
	v_add_co_u32_e32 v11, vcc, v12, v11
	v_addc_co_u32_e32 v10, vcc, v13, v10, vcc
	v_addc_co_u32_e32 v9, vcc, 0, v9, vcc
	v_add_co_u32_e32 v8, vcc, v10, v8
	v_addc_co_u32_e32 v9, vcc, 0, v9, vcc
	v_add_co_u32_e32 v4, vcc, v4, v8
	v_addc_co_u32_e32 v9, vcc, v7, v9, vcc
	v_mad_u64_u32 v[7:8], s[0:1], v5, v9, 0
	v_mul_hi_u32 v10, v5, v4
	v_add_co_u32_e32 v11, vcc, v10, v7
	v_addc_co_u32_e32 v12, vcc, 0, v8, vcc
	v_mad_u64_u32 v[7:8], s[0:1], v6, v4, 0
	v_mad_u64_u32 v[9:10], s[0:1], v6, v9, 0
	v_add_co_u32_e32 v4, vcc, v11, v7
	v_addc_co_u32_e32 v4, vcc, v12, v8, vcc
	v_addc_co_u32_e32 v7, vcc, 0, v10, vcc
	v_add_co_u32_e32 v4, vcc, v4, v9
	v_addc_co_u32_e32 v9, vcc, 0, v7, vcc
	v_mul_lo_u32 v10, s21, v4
	v_mul_lo_u32 v11, s20, v9
	v_mad_u64_u32 v[7:8], s[0:1], s20, v4, 0
	v_add3_u32 v8, v8, v11, v10
	v_sub_u32_e32 v10, v6, v8
	v_mov_b32_e32 v11, s21
	v_sub_co_u32_e32 v7, vcc, v5, v7
	v_subb_co_u32_e64 v10, s[0:1], v10, v11, vcc
	v_subrev_co_u32_e64 v11, s[0:1], s20, v7
	v_subbrev_co_u32_e64 v10, s[0:1], 0, v10, s[0:1]
	v_cmp_le_u32_e64 s[0:1], s21, v10
	v_cndmask_b32_e64 v12, 0, -1, s[0:1]
	v_cmp_le_u32_e64 s[0:1], s20, v11
	v_cndmask_b32_e64 v11, 0, -1, s[0:1]
	v_cmp_eq_u32_e64 s[0:1], s21, v10
	v_cndmask_b32_e64 v10, v12, v11, s[0:1]
	v_add_co_u32_e64 v11, s[0:1], 2, v4
	v_addc_co_u32_e64 v12, s[0:1], 0, v9, s[0:1]
	v_add_co_u32_e64 v13, s[0:1], 1, v4
	v_addc_co_u32_e64 v14, s[0:1], 0, v9, s[0:1]
	v_subb_co_u32_e32 v8, vcc, v6, v8, vcc
	v_cmp_ne_u32_e64 s[0:1], 0, v10
	v_cmp_le_u32_e32 vcc, s21, v8
	v_cndmask_b32_e64 v10, v14, v12, s[0:1]
	v_cndmask_b32_e64 v12, 0, -1, vcc
	v_cmp_le_u32_e32 vcc, s20, v7
	v_cndmask_b32_e64 v7, 0, -1, vcc
	v_cmp_eq_u32_e32 vcc, s21, v8
	v_cndmask_b32_e32 v7, v12, v7, vcc
	v_cmp_ne_u32_e32 vcc, 0, v7
	v_cndmask_b32_e64 v7, v13, v11, s[0:1]
	v_cndmask_b32_e32 v8, v9, v10, vcc
	v_cndmask_b32_e32 v7, v4, v7, vcc
.LBB0_4:                                ;   in Loop: Header=BB0_2 Depth=1
	s_andn2_saveexec_b64 s[0:1], s[22:23]
	s_cbranch_execz .LBB0_6
; %bb.5:                                ;   in Loop: Header=BB0_2 Depth=1
	v_cvt_f32_u32_e32 v4, s20
	s_sub_i32 s22, 0, s20
	v_rcp_iflag_f32_e32 v4, v4
	v_mul_f32_e32 v4, 0x4f7ffffe, v4
	v_cvt_u32_f32_e32 v4, v4
	v_mul_lo_u32 v7, s22, v4
	v_mul_hi_u32 v7, v4, v7
	v_add_u32_e32 v4, v4, v7
	v_mul_hi_u32 v4, v5, v4
	v_mul_lo_u32 v7, v4, s20
	v_add_u32_e32 v8, 1, v4
	v_sub_u32_e32 v7, v5, v7
	v_subrev_u32_e32 v9, s20, v7
	v_cmp_le_u32_e32 vcc, s20, v7
	v_cndmask_b32_e32 v7, v7, v9, vcc
	v_cndmask_b32_e32 v4, v4, v8, vcc
	v_add_u32_e32 v8, 1, v4
	v_cmp_le_u32_e32 vcc, s20, v7
	v_cndmask_b32_e32 v7, v4, v8, vcc
	v_mov_b32_e32 v8, v3
.LBB0_6:                                ;   in Loop: Header=BB0_2 Depth=1
	s_or_b64 exec, exec, s[0:1]
	v_mul_lo_u32 v4, v8, s20
	v_mul_lo_u32 v11, v7, s21
	v_mad_u64_u32 v[9:10], s[0:1], v7, s20, 0
	s_load_dwordx2 s[0:1], s[6:7], 0x0
	s_add_u32 s18, s18, 1
	v_add3_u32 v4, v10, v11, v4
	v_sub_co_u32_e32 v5, vcc, v5, v9
	v_subb_co_u32_e32 v4, vcc, v6, v4, vcc
	s_waitcnt lgkmcnt(0)
	v_mul_lo_u32 v4, s0, v4
	v_mul_lo_u32 v6, s1, v5
	v_mad_u64_u32 v[1:2], s[0:1], s0, v5, v[1:2]
	s_addc_u32 s19, s19, 0
	s_add_u32 s6, s6, 8
	v_add3_u32 v2, v6, v2, v4
	v_mov_b32_e32 v4, s10
	v_mov_b32_e32 v5, s11
	s_addc_u32 s7, s7, 0
	v_cmp_ge_u64_e32 vcc, s[18:19], v[4:5]
	s_add_u32 s16, s16, 8
	s_addc_u32 s17, s17, 0
	s_cbranch_vccnz .LBB0_9
; %bb.7:                                ;   in Loop: Header=BB0_2 Depth=1
	v_mov_b32_e32 v5, v7
	v_mov_b32_e32 v6, v8
	s_branch .LBB0_2
.LBB0_8:
	v_mov_b32_e32 v8, v6
	v_mov_b32_e32 v7, v5
.LBB0_9:
	s_lshl_b64 s[0:1], s[10:11], 3
	s_add_u32 s0, s14, s0
	s_addc_u32 s1, s15, s1
	s_load_dwordx2 s[6:7], s[0:1], 0x0
	s_load_dwordx2 s[10:11], s[4:5], 0x20
	v_mov_b32_e32 v10, 0
	v_mov_b32_e32 v53, 0
                                        ; implicit-def: $vgpr54
                                        ; implicit-def: $vgpr27
                                        ; implicit-def: $vgpr55
                                        ; implicit-def: $vgpr56
                                        ; implicit-def: $vgpr57
                                        ; implicit-def: $vgpr58
                                        ; implicit-def: $vgpr6
                                        ; implicit-def: $vgpr59
                                        ; implicit-def: $vgpr60
                                        ; implicit-def: $vgpr61
                                        ; implicit-def: $vgpr9
                                        ; implicit-def: $vgpr62
                                        ; implicit-def: $vgpr18
                                        ; implicit-def: $vgpr63
                                        ; implicit-def: $vgpr19
                                        ; implicit-def: $vgpr64
                                        ; implicit-def: $vgpr20
                                        ; implicit-def: $vgpr65
                                        ; implicit-def: $vgpr21
                                        ; implicit-def: $vgpr66
                                        ; implicit-def: $vgpr22
                                        ; implicit-def: $vgpr67
                                        ; implicit-def: $vgpr23
                                        ; implicit-def: $vgpr68
                                        ; implicit-def: $vgpr24
                                        ; implicit-def: $vgpr69
                                        ; implicit-def: $vgpr25
                                        ; implicit-def: $vgpr70
                                        ; implicit-def: $vgpr26
                                        ; implicit-def: $vgpr46
                                        ; implicit-def: $vgpr17
                                        ; implicit-def: $vgpr45
                                        ; implicit-def: $vgpr16
                                        ; implicit-def: $vgpr44
                                        ; implicit-def: $vgpr15
                                        ; implicit-def: $vgpr41
                                        ; implicit-def: $vgpr14
                                        ; implicit-def: $vgpr40
                                        ; implicit-def: $vgpr13
                                        ; implicit-def: $vgpr39
                                        ; implicit-def: $vgpr12
                                        ; implicit-def: $vgpr37
                                        ; implicit-def: $vgpr11
                                        ; implicit-def: $vgpr36
                                        ; implicit-def: $vgpr28
                                        ; implicit-def: $vgpr38
                                        ; implicit-def: $vgpr29
                                        ; implicit-def: $vgpr52
                                        ; implicit-def: $vgpr42
                                        ; implicit-def: $vgpr51
                                        ; implicit-def: $vgpr35
                                        ; implicit-def: $vgpr50
                                        ; implicit-def: $vgpr34
                                        ; implicit-def: $vgpr49
                                        ; implicit-def: $vgpr33
                                        ; implicit-def: $vgpr48
                                        ; implicit-def: $vgpr32
                                        ; implicit-def: $vgpr47
                                        ; implicit-def: $vgpr31
                                        ; implicit-def: $vgpr43
                                        ; implicit-def: $vgpr30
	s_waitcnt lgkmcnt(0)
	v_mad_u64_u32 v[1:2], s[0:1], s6, v7, v[1:2]
	s_mov_b32 s0, 0x5050506
	v_mul_lo_u32 v3, s6, v8
	v_mul_lo_u32 v4, s7, v7
	v_mul_hi_u32 v5, v0, s0
	v_cmp_gt_u64_e32 vcc, s[10:11], v[7:8]
                                        ; implicit-def: $vgpr7
                                        ; implicit-def: $vgpr8
	v_add3_u32 v2, v4, v2, v3
	v_mul_u32_u24_e32 v3, 51, v5
	v_sub_u32_e32 v4, v0, v3
	v_lshlrev_b64 v[0:1], 2, v[1:2]
                                        ; implicit-def: $vgpr2
                                        ; implicit-def: $vgpr3
                                        ; implicit-def: $vgpr5
	s_and_saveexec_b64 s[4:5], vcc
	s_cbranch_execz .LBB0_13
; %bb.10:
	v_mad_u64_u32 v[2:3], s[0:1], s2, v4, 0
	v_add_u32_e32 v9, 0x51, v4
	v_mov_b32_e32 v8, s13
	v_mad_u64_u32 v[5:6], s[0:1], s3, v4, v[3:4]
	v_mad_u64_u32 v[6:7], s[0:1], s2, v9, 0
	v_mov_b32_e32 v3, v5
	v_add_co_u32_e64 v54, s[0:1], s12, v0
	v_mov_b32_e32 v5, v7
	v_addc_co_u32_e64 v55, s[0:1], v8, v1, s[0:1]
	v_mad_u64_u32 v[7:8], s[0:1], s3, v9, v[5:6]
	v_add_u32_e32 v12, 0xa2, v4
	v_mad_u64_u32 v[8:9], s[0:1], s2, v12, 0
	v_lshlrev_b64 v[2:3], 2, v[2:3]
	v_add_u32_e32 v14, 0xf3, v4
	v_add_co_u32_e64 v10, s[0:1], v54, v2
	v_mov_b32_e32 v5, v9
	v_addc_co_u32_e64 v11, s[0:1], v55, v3, s[0:1]
	v_lshlrev_b64 v[2:3], 2, v[6:7]
	v_mad_u64_u32 v[5:6], s[0:1], s3, v12, v[5:6]
	v_mad_u64_u32 v[6:7], s[0:1], s2, v14, 0
	v_add_co_u32_e64 v12, s[0:1], v54, v2
	v_mov_b32_e32 v9, v5
	v_mov_b32_e32 v5, v7
	v_addc_co_u32_e64 v13, s[0:1], v55, v3, s[0:1]
	v_lshlrev_b64 v[2:3], 2, v[8:9]
	v_mad_u64_u32 v[7:8], s[0:1], s3, v14, v[5:6]
	v_add_u32_e32 v16, 0x144, v4
	v_mad_u64_u32 v[8:9], s[0:1], s2, v16, 0
	v_add_co_u32_e64 v14, s[0:1], v54, v2
	v_mov_b32_e32 v5, v9
	v_addc_co_u32_e64 v15, s[0:1], v55, v3, s[0:1]
	v_lshlrev_b64 v[2:3], 2, v[6:7]
	v_mad_u64_u32 v[5:6], s[0:1], s3, v16, v[5:6]
	v_add_u32_e32 v18, 0x195, v4
	v_mad_u64_u32 v[6:7], s[0:1], s2, v18, 0
	v_add_co_u32_e64 v16, s[0:1], v54, v2
	v_mov_b32_e32 v9, v5
	v_mov_b32_e32 v5, v7
	v_addc_co_u32_e64 v17, s[0:1], v55, v3, s[0:1]
	v_lshlrev_b64 v[2:3], 2, v[8:9]
	v_mad_u64_u32 v[7:8], s[0:1], s3, v18, v[5:6]
	v_add_u32_e32 v20, 0x1e6, v4
	v_mad_u64_u32 v[8:9], s[0:1], s2, v20, 0
	v_add_co_u32_e64 v18, s[0:1], v54, v2
	v_mov_b32_e32 v5, v9
	v_addc_co_u32_e64 v19, s[0:1], v55, v3, s[0:1]
	v_lshlrev_b64 v[2:3], 2, v[6:7]
	v_mad_u64_u32 v[5:6], s[0:1], s3, v20, v[5:6]
	v_add_u32_e32 v22, 0x237, v4
	v_mad_u64_u32 v[6:7], s[0:1], s2, v22, 0
	v_add_co_u32_e64 v20, s[0:1], v54, v2
	v_mov_b32_e32 v9, v5
	v_addc_co_u32_e64 v21, s[0:1], v55, v3, s[0:1]
	v_lshlrev_b64 v[2:3], 2, v[8:9]
	v_mov_b32_e32 v5, v7
	v_mad_u64_u32 v[7:8], s[0:1], s3, v22, v[5:6]
	v_add_co_u32_e64 v22, s[0:1], v54, v2
	v_add_u32_e32 v5, 0x288, v4
	v_addc_co_u32_e64 v23, s[0:1], v55, v3, s[0:1]
	v_mad_u64_u32 v[24:25], s[0:1], s2, v5, 0
	v_lshlrev_b64 v[2:3], 2, v[6:7]
	v_mov_b32_e32 v53, 0
	v_add_co_u32_e64 v28, s[0:1], v54, v2
	v_mov_b32_e32 v2, v25
	v_addc_co_u32_e64 v29, s[0:1], v55, v3, s[0:1]
	v_mad_u64_u32 v[25:26], s[0:1], s3, v5, v[2:3]
	v_add_u32_e32 v26, 0x2d9, v4
	v_mad_u64_u32 v[30:31], s[0:1], s2, v26, 0
	global_load_dword v27, v[10:11], off
	global_load_dword v2, v[12:13], off
	;; [unrolled: 1-line block ×8, first 2 shown]
	v_add_u32_e32 v17, 0x32a, v4
	v_mov_b32_e32 v12, v31
	v_mad_u64_u32 v[12:13], s[0:1], s3, v26, v[12:13]
	v_mad_u64_u32 v[13:14], s[0:1], s2, v17, 0
	v_lshlrev_b64 v[10:11], 2, v[24:25]
	v_mov_b32_e32 v31, v12
	v_add_co_u32_e64 v10, s[0:1], v54, v10
	v_mov_b32_e32 v12, v14
	v_addc_co_u32_e64 v11, s[0:1], v55, v11, s[0:1]
	v_mad_u64_u32 v[17:18], s[0:1], s3, v17, v[12:13]
	v_add_u32_e32 v20, 0x37b, v4
	v_mad_u64_u32 v[18:19], s[0:1], s2, v20, 0
	v_lshlrev_b64 v[15:16], 2, v[30:31]
	v_mov_b32_e32 v14, v17
	v_add_co_u32_e64 v15, s[0:1], v54, v15
	v_lshlrev_b64 v[12:13], 2, v[13:14]
	v_mov_b32_e32 v14, v19
	v_addc_co_u32_e64 v16, s[0:1], v55, v16, s[0:1]
	v_mad_u64_u32 v[19:20], s[0:1], s3, v20, v[14:15]
	v_add_u32_e32 v22, 0x3cc, v4
	v_mad_u64_u32 v[20:21], s[0:1], s2, v22, 0
	v_add_co_u32_e64 v12, s[0:1], v54, v12
	v_mov_b32_e32 v14, v21
	v_addc_co_u32_e64 v13, s[0:1], v55, v13, s[0:1]
	v_lshlrev_b64 v[17:18], 2, v[18:19]
	v_mad_u64_u32 v[21:22], s[0:1], s3, v22, v[14:15]
	v_add_u32_e32 v19, 0x41d, v4
	v_mad_u64_u32 v[22:23], s[0:1], s2, v19, 0
	v_add_co_u32_e64 v28, s[0:1], v54, v17
	v_mov_b32_e32 v14, v23
	v_addc_co_u32_e64 v29, s[0:1], v55, v18, s[0:1]
	v_lshlrev_b64 v[17:18], 2, v[20:21]
	v_mad_u64_u32 v[19:20], s[0:1], s3, v19, v[14:15]
	v_add_u32_e32 v24, 0x46e, v4
	v_mad_u64_u32 v[20:21], s[0:1], s2, v24, 0
	v_add_co_u32_e64 v30, s[0:1], v54, v17
	v_mov_b32_e32 v23, v19
	v_mov_b32_e32 v14, v21
	v_addc_co_u32_e64 v31, s[0:1], v55, v18, s[0:1]
	v_lshlrev_b64 v[17:18], 2, v[22:23]
	v_mad_u64_u32 v[21:22], s[0:1], s3, v24, v[14:15]
	v_add_u32_e32 v19, 0x4bf, v4
	v_mad_u64_u32 v[22:23], s[0:1], s2, v19, 0
	v_add_co_u32_e64 v32, s[0:1], v54, v17
	v_mov_b32_e32 v14, v23
	v_addc_co_u32_e64 v33, s[0:1], v55, v18, s[0:1]
	v_lshlrev_b64 v[17:18], 2, v[20:21]
	v_mad_u64_u32 v[19:20], s[0:1], s3, v19, v[14:15]
	v_add_co_u32_e64 v34, s[0:1], v54, v17
	v_mov_b32_e32 v23, v19
	v_add_u32_e32 v19, 0x510, v4
	v_addc_co_u32_e64 v35, s[0:1], v55, v18, s[0:1]
	v_mad_u64_u32 v[36:37], s[0:1], s2, v19, 0
	v_lshlrev_b64 v[17:18], 2, v[22:23]
                                        ; implicit-def: $vgpr43
                                        ; implicit-def: $vgpr47
                                        ; implicit-def: $vgpr48
                                        ; implicit-def: $vgpr49
                                        ; implicit-def: $vgpr50
                                        ; implicit-def: $vgpr51
                                        ; implicit-def: $vgpr42
                                        ; implicit-def: $vgpr52
                                        ; implicit-def: $vgpr40
                                        ; implicit-def: $vgpr41
                                        ; implicit-def: $vgpr44
                                        ; implicit-def: $vgpr45
                                        ; implicit-def: $vgpr46
	v_add_co_u32_e64 v38, s[0:1], v54, v17
	v_mov_b32_e32 v14, v37
	v_addc_co_u32_e64 v39, s[0:1], v55, v18, s[0:1]
	v_mad_u64_u32 v[17:18], s[0:1], s3, v19, v[14:15]
	global_load_dword v18, v[10:11], off
	global_load_dword v19, v[15:16], off
	;; [unrolled: 1-line block ×8, first 2 shown]
                                        ; implicit-def: $vgpr30
                                        ; implicit-def: $vgpr31
                                        ; implicit-def: $vgpr32
                                        ; implicit-def: $vgpr33
                                        ; implicit-def: $vgpr34
                                        ; implicit-def: $vgpr35
                                        ; implicit-def: $vgpr29
                                        ; implicit-def: $vgpr38
                                        ; implicit-def: $vgpr28
                                        ; implicit-def: $vgpr12
                                        ; implicit-def: $vgpr39
                                        ; implicit-def: $vgpr13
                                        ; implicit-def: $vgpr14
                                        ; implicit-def: $vgpr15
                                        ; implicit-def: $vgpr16
	v_mov_b32_e32 v37, v17
	v_lshlrev_b64 v[10:11], 2, v[36:37]
                                        ; implicit-def: $vgpr36
                                        ; implicit-def: $vgpr37
                                        ; implicit-def: $vgpr17
	v_add_co_u32_e64 v10, s[0:1], v54, v10
	v_addc_co_u32_e64 v11, s[0:1], v55, v11, s[0:1]
	global_load_dword v26, v[10:11], off
	v_cmp_gt_u32_e64 s[0:1], 30, v4
	v_mov_b32_e32 v10, 0
                                        ; implicit-def: $vgpr11
	s_and_saveexec_b64 s[6:7], s[0:1]
	s_cbranch_execz .LBB0_12
; %bb.11:
	v_add_u32_e32 v14, 51, v4
	v_add_u32_e32 v16, 0x84, v4
	v_mad_u64_u32 v[10:11], s[0:1], s2, v14, 0
	v_mad_u64_u32 v[12:13], s[0:1], s2, v16, 0
	v_add_u32_e32 v48, 0x30c, v4
	v_mad_u64_u32 v[14:15], s[0:1], s3, v14, v[11:12]
	v_mov_b32_e32 v11, v14
	v_mad_u64_u32 v[13:14], s[0:1], s3, v16, v[13:14]
	v_add_u32_e32 v16, 0xd5, v4
	v_mad_u64_u32 v[14:15], s[0:1], s2, v16, 0
	v_lshlrev_b64 v[10:11], 2, v[10:11]
	v_add_co_u32_e64 v28, s[0:1], v54, v10
	v_addc_co_u32_e64 v29, s[0:1], v55, v11, s[0:1]
	v_lshlrev_b64 v[10:11], 2, v[12:13]
	v_mov_b32_e32 v12, v15
	v_mad_u64_u32 v[12:13], s[0:1], s3, v16, v[12:13]
	v_add_u32_e32 v13, 0x126, v4
	v_mad_u64_u32 v[16:17], s[0:1], s2, v13, 0
	v_add_co_u32_e64 v30, s[0:1], v54, v10
	v_mov_b32_e32 v15, v12
	v_mov_b32_e32 v12, v17
	v_addc_co_u32_e64 v31, s[0:1], v55, v11, s[0:1]
	v_lshlrev_b64 v[10:11], 2, v[14:15]
	v_mad_u64_u32 v[12:13], s[0:1], s3, v13, v[12:13]
	v_add_u32_e32 v15, 0x177, v4
	v_mad_u64_u32 v[13:14], s[0:1], s2, v15, 0
	v_add_co_u32_e64 v32, s[0:1], v54, v10
	v_mov_b32_e32 v17, v12
	v_mov_b32_e32 v12, v14
	v_addc_co_u32_e64 v33, s[0:1], v55, v11, s[0:1]
	v_lshlrev_b64 v[10:11], 2, v[16:17]
	v_mad_u64_u32 v[14:15], s[0:1], s3, v15, v[12:13]
	v_add_u32_e32 v17, 0x1c8, v4
	v_mad_u64_u32 v[15:16], s[0:1], s2, v17, 0
	v_add_co_u32_e64 v34, s[0:1], v54, v10
	v_mov_b32_e32 v12, v16
	v_addc_co_u32_e64 v35, s[0:1], v55, v11, s[0:1]
	v_lshlrev_b64 v[10:11], 2, v[13:14]
	v_mad_u64_u32 v[12:13], s[0:1], s3, v17, v[12:13]
	v_add_u32_e32 v17, 0x219, v4
	v_mad_u64_u32 v[13:14], s[0:1], s2, v17, 0
	v_add_co_u32_e64 v36, s[0:1], v54, v10
	v_mov_b32_e32 v16, v12
	v_mov_b32_e32 v12, v14
	v_addc_co_u32_e64 v37, s[0:1], v55, v11, s[0:1]
	v_lshlrev_b64 v[10:11], 2, v[15:16]
	v_mad_u64_u32 v[14:15], s[0:1], s3, v17, v[12:13]
	v_add_u32_e32 v17, 0x26a, v4
	v_mad_u64_u32 v[15:16], s[0:1], s2, v17, 0
	v_add_co_u32_e64 v38, s[0:1], v54, v10
	v_mov_b32_e32 v12, v16
	v_addc_co_u32_e64 v39, s[0:1], v55, v11, s[0:1]
	v_lshlrev_b64 v[10:11], 2, v[13:14]
	v_mad_u64_u32 v[12:13], s[0:1], s3, v17, v[12:13]
	v_add_co_u32_e64 v40, s[0:1], v54, v10
	v_mov_b32_e32 v16, v12
	v_add_u32_e32 v12, 0x2bb, v4
	v_addc_co_u32_e64 v41, s[0:1], v55, v11, s[0:1]
	v_mad_u64_u32 v[42:43], s[0:1], s2, v12, 0
	v_lshlrev_b64 v[10:11], 2, v[15:16]
	v_add_co_u32_e64 v44, s[0:1], v54, v10
	v_mov_b32_e32 v10, v43
	v_addc_co_u32_e64 v45, s[0:1], v55, v11, s[0:1]
	v_mad_u64_u32 v[10:11], s[0:1], s3, v12, v[10:11]
	global_load_dword v53, v[28:29], off
	global_load_dword v17, v[30:31], off
	;; [unrolled: 1-line block ×8, first 2 shown]
	v_mad_u64_u32 v[46:47], s[0:1], s2, v48, 0
	v_mov_b32_e32 v43, v10
	v_add_u32_e32 v33, 0x35d, v4
	v_mov_b32_e32 v10, v47
	v_lshlrev_b64 v[28:29], 2, v[42:43]
	v_add_u32_e32 v35, 0x3ff, v4
	s_waitcnt vmcnt(0)
	v_mad_u64_u32 v[30:31], s[0:1], s3, v48, v[10:11]
	v_mad_u64_u32 v[31:32], s[0:1], s2, v33, 0
	v_add_co_u32_e64 v36, s[0:1], v54, v28
	v_mov_b32_e32 v10, v32
	v_addc_co_u32_e64 v37, s[0:1], v55, v29, s[0:1]
	v_mov_b32_e32 v47, v30
	v_mad_u64_u32 v[32:33], s[0:1], s3, v33, v[10:11]
	v_add_u32_e32 v30, 0x3ae, v4
	v_mad_u64_u32 v[33:34], s[0:1], s2, v30, 0
	v_lshlrev_b64 v[28:29], 2, v[46:47]
	v_add_co_u32_e64 v38, s[0:1], v54, v28
	v_mov_b32_e32 v10, v34
	v_addc_co_u32_e64 v39, s[0:1], v55, v29, s[0:1]
	v_lshlrev_b64 v[28:29], 2, v[31:32]
	v_mad_u64_u32 v[30:31], s[0:1], s3, v30, v[10:11]
	v_mad_u64_u32 v[31:32], s[0:1], s2, v35, 0
	v_add_co_u32_e64 v40, s[0:1], v54, v28
	v_mov_b32_e32 v34, v30
	v_mov_b32_e32 v10, v32
	v_addc_co_u32_e64 v41, s[0:1], v55, v29, s[0:1]
	v_lshlrev_b64 v[28:29], 2, v[33:34]
	v_mad_u64_u32 v[32:33], s[0:1], s3, v35, v[10:11]
	v_add_u32_e32 v30, 0x450, v4
	v_mad_u64_u32 v[33:34], s[0:1], s2, v30, 0
	v_add_co_u32_e64 v42, s[0:1], v54, v28
	v_mov_b32_e32 v10, v34
	v_addc_co_u32_e64 v43, s[0:1], v55, v29, s[0:1]
	v_lshlrev_b64 v[28:29], 2, v[31:32]
	v_mad_u64_u32 v[30:31], s[0:1], s3, v30, v[10:11]
	v_add_u32_e32 v35, 0x4a1, v4
	v_mad_u64_u32 v[31:32], s[0:1], s2, v35, 0
	v_add_co_u32_e64 v44, s[0:1], v54, v28
	v_mov_b32_e32 v34, v30
	v_mov_b32_e32 v10, v32
	v_addc_co_u32_e64 v45, s[0:1], v55, v29, s[0:1]
	v_lshlrev_b64 v[28:29], 2, v[33:34]
	v_mad_u64_u32 v[32:33], s[0:1], s3, v35, v[10:11]
	v_add_u32_e32 v30, 0x4f2, v4
	v_mad_u64_u32 v[33:34], s[0:1], s2, v30, 0
	v_add_co_u32_e64 v46, s[0:1], v54, v28
	v_mov_b32_e32 v10, v34
	v_addc_co_u32_e64 v47, s[0:1], v55, v29, s[0:1]
	v_lshlrev_b64 v[28:29], 2, v[31:32]
	v_mad_u64_u32 v[30:31], s[0:1], s3, v30, v[10:11]
	v_add_co_u32_e64 v48, s[0:1], v54, v28
	v_mov_b32_e32 v34, v30
	v_add_u32_e32 v30, 0x543, v4
	v_addc_co_u32_e64 v49, s[0:1], v55, v29, s[0:1]
	v_mad_u64_u32 v[50:51], s[0:1], s2, v30, 0
	v_lshlrev_b64 v[28:29], 2, v[33:34]
	v_add_co_u32_e64 v56, s[0:1], v54, v28
	v_mov_b32_e32 v10, v51
	v_addc_co_u32_e64 v57, s[0:1], v55, v29, s[0:1]
	v_mad_u64_u32 v[51:52], s[0:1], s3, v30, v[10:11]
	global_load_dword v28, v[36:37], off
	global_load_dword v29, v[38:39], off
	;; [unrolled: 1-line block ×8, first 2 shown]
	v_lshrrev_b32_e32 v10, 16, v53
	v_lshlrev_b64 v[36:37], 2, v[50:51]
	v_lshrrev_b32_e32 v46, 16, v17
	v_add_co_u32_e64 v36, s[0:1], v54, v36
	v_addc_co_u32_e64 v37, s[0:1], v55, v37, s[0:1]
	global_load_dword v42, v[36:37], off
	v_lshrrev_b32_e32 v45, 16, v16
	v_lshrrev_b32_e32 v44, 16, v15
	;; [unrolled: 1-line block ×6, first 2 shown]
	s_waitcnt vmcnt(8)
	v_lshrrev_b32_e32 v36, 16, v28
	s_waitcnt vmcnt(7)
	v_lshrrev_b32_e32 v38, 16, v29
	;; [unrolled: 2-line block ×9, first 2 shown]
.LBB0_12:
	s_or_b64 exec, exec, s[6:7]
	s_waitcnt vmcnt(16)
	v_lshrrev_b32_e32 v54, 16, v27
	s_waitcnt vmcnt(15)
	v_lshrrev_b32_e32 v55, 16, v2
	;; [unrolled: 2-line block ×17, first 2 shown]
.LBB0_13:
	s_or_b64 exec, exec, s[4:5]
	v_sub_f16_e32 v71, v55, v70
	s_mov_b32 s43, 0xb964b5c8
	v_add_f16_e32 v76, v2, v26
	v_sub_f16_e32 v75, v56, v69
	s_mov_b32 s6, 0x39e93b76
	v_pk_mul_f16 v90, v71, s43 op_sel_hi:[0,1]
	s_mov_b32 s47, 0xbbf7b964
	v_add_f16_e32 v77, v3, v25
	v_sub_f16_e32 v79, v57, v68
	v_pk_fma_f16 v72, v76, s6, v90 op_sel_hi:[0,1,1]
	s_mov_b32 s14, 0x2de839e9
	v_pk_mul_f16 v91, v75, s47 op_sel_hi:[0,1]
	s_mov_b32 s51, 0xba62bb29
	v_add_f16_e32 v78, v5, v24
	v_sub_f16_e32 v81, v58, v67
	v_pk_add_f16 v72, v72, v27 op_sel_hi:[1,0]
	v_pk_fma_f16 v73, v77, s14, v91 op_sel_hi:[0,1,1]
	s_mov_b32 s18, 0xb8d23722
	v_pk_mul_f16 v92, v79, s51 op_sel_hi:[0,1]
	s_mov_b32 s55, 0xb1e1bbf7
	v_add_f16_e32 v80, v6, v23
	v_sub_f16_e32 v83, v59, v66
	v_pk_add_f16 v72, v73, v72
	v_pk_fma_f16 v73, v78, s18, v92 op_sel_hi:[0,1,1]
	s_mov_b32 s22, 0xbbdd2de8
	v_pk_mul_f16 v93, v81, s55 op_sel_hi:[0,1]
	s_mov_b32 s59, 0x3836bbb2
	v_add_f16_e32 v82, v7, v22
	v_sub_f16_e32 v85, v60, v65
	v_pk_add_f16 v72, v73, v72
	;; [unrolled: 7-line block ×4, first 2 shown]
	v_pk_fma_f16 v73, v84, s30, v95 op_sel_hi:[0,1,1]
	s_mov_b32 s35, 0x3722bacd
	v_pk_mul_f16 v96, v87, s67 op_sel_hi:[0,1]
	s_mov_b32 s71, 0x35c8b1e1
	v_add_f16_e32 v88, v18, v19
	v_pk_add_f16 v72, v73, v72
	v_pk_fma_f16 v73, v86, s35, v96 op_sel_hi:[0,1,1]
	s_mov_b32 s39, 0x3b76bbdd
	v_pk_mul_f16 v97, v89, s71 op_sel_hi:[0,1]
	s_mov_b32 s44, 0xbbf7bb29
	v_pk_add_f16 v72, v73, v72
	v_pk_fma_f16 v73, v88, s39, v97 op_sel_hi:[0,1,1]
	s_mov_b32 s7, 0x2de83722
	v_pk_mul_f16 v98, v71, s44 op_sel_hi:[0,1]
	s_mov_b32 s48, 0xb1e1ba62
	;; [unrolled: 5-line block ×3, first 2 shown]
	v_pk_add_f16 v73, v73, v27 op_sel_hi:[1,0]
	v_pk_fma_f16 v74, v77, s15, v99 op_sel_hi:[0,1,1]
	s_mov_b32 s19, 0xb461bbdd
	v_pk_mul_f16 v100, v79, s52 op_sel_hi:[0,1]
	s_mov_b32 s56, 0x35c83bb2
	v_pk_add_f16 v73, v74, v73
	v_pk_fma_f16 v74, v78, s19, v100 op_sel_hi:[0,1,1]
	s_mov_b32 s23, 0x3b76b461
	v_pk_mul_f16 v101, v81, s56 op_sel_hi:[0,1]
	s_mov_b32 s60, 0xbb293964
	v_pk_add_f16 v73, v74, v73
	;; [unrolled: 5-line block ×7, first 2 shown]
	v_pk_fma_f16 v74, v76, s10, v106 op_sel_hi:[0,1,1]
	s_mov_b32 s16, 0xb461bacd
	v_pk_mul_f16 v107, v75, s49 op_sel_hi:[0,1]
	v_pk_add_f16 v74, v74, v27 op_sel_hi:[1,0]
	v_pk_fma_f16 v108, v77, s16, v107 op_sel_hi:[0,1,1]
	s_mov_b32 s53, 0xb5c83964
	v_pk_add_f16 v74, v108, v74
	s_mov_b32 s20, 0x3b7639e9
	v_pk_mul_f16 v108, v79, s53 op_sel_hi:[0,1]
	v_pk_fma_f16 v109, v78, s20, v108 op_sel_hi:[0,1,1]
	s_mov_b32 s57, 0xb836bb29
	v_pk_add_f16 v74, v109, v74
	s_mov_b32 s24, 0xbacd3722
	v_pk_mul_f16 v109, v81, s57 op_sel_hi:[0,1]
	;; [unrolled: 5-line block ×7, first 2 shown]
	s_mov_b32 s50, 0x35c83b29
	v_pk_fma_f16 v71, v76, s11, v114 op_sel_hi:[0,1,1]
	s_mov_b32 s17, 0x3b763722
	v_pk_mul_f16 v115, v75, s50 op_sel_hi:[0,1]
	s_mov_b32 s54, 0xb836bbf7
	v_pk_add_f16 v71, v71, v27 op_sel_hi:[1,0]
	v_pk_fma_f16 v75, v77, s17, v115 op_sel_hi:[0,1,1]
	s_mov_b32 s21, 0xbacd2de8
	v_pk_mul_f16 v79, v79, s54 op_sel_hi:[0,1]
	s_mov_b32 s58, 0x39643a62
	v_pk_add_f16 v71, v75, v71
	v_pk_fma_f16 v75, v78, s21, v79 op_sel_hi:[0,1,1]
	s_mov_b32 s25, 0x39e9b8d2
	v_pk_mul_f16 v81, v81, s58 op_sel_hi:[0,1]
	s_mov_b32 s62, 0xba62b5c8
	v_pk_add_f16 v71, v75, v71
	;; [unrolled: 5-line block ×5, first 2 shown]
	v_pk_fma_f16 v75, v86, s38, v87 op_sel_hi:[0,1,1]
	s_mov_b32 s42, 0x2de8b461
	v_pk_mul_f16 v89, v89, s74 op_sel_hi:[0,1]
	v_pk_add_f16 v71, v75, v71
	v_pk_fma_f16 v75, v88, s42, v89 op_sel_hi:[0,1,1]
	v_pk_add_f16 v75, v75, v71
	v_mad_u32_u24 v71, v4, 34, 0
	ds_write_b128 v71, v[72:75] offset:2
	v_add_f16_e32 v72, v27, v2
	v_add_f16_e32 v72, v72, v3
	;; [unrolled: 1-line block ×16, first 2 shown]
	ds_write_b16 v71, v72
	v_pk_fma_f16 v72, v76, s11, v114 op_sel_hi:[0,1,1] neg_lo:[0,0,1] neg_hi:[0,0,1]
	v_pk_add_f16 v72, v72, v27 op_sel_hi:[1,0]
	v_pk_fma_f16 v73, v77, s17, v115 op_sel_hi:[0,1,1] neg_lo:[0,0,1] neg_hi:[0,0,1]
	v_pk_add_f16 v72, v73, v72
	v_pk_fma_f16 v73, v78, s21, v79 op_sel_hi:[0,1,1] neg_lo:[0,0,1] neg_hi:[0,0,1]
	v_pk_add_f16 v72, v73, v72
	v_pk_fma_f16 v73, v80, s25, v81 op_sel_hi:[0,1,1] neg_lo:[0,0,1] neg_hi:[0,0,1]
	v_pk_add_f16 v72, v73, v72
	v_pk_fma_f16 v73, v82, s29, v83 op_sel_hi:[0,1,1] neg_lo:[0,0,1] neg_hi:[0,0,1]
	v_pk_add_f16 v72, v73, v72
	v_pk_fma_f16 v73, v84, s34, v85 op_sel_hi:[0,1,1] neg_lo:[0,0,1] neg_hi:[0,0,1]
	v_pk_add_f16 v72, v73, v72
	v_pk_fma_f16 v73, v86, s38, v87 op_sel_hi:[0,1,1] neg_lo:[0,0,1] neg_hi:[0,0,1]
	v_pk_add_f16 v72, v73, v72
	v_pk_fma_f16 v73, v88, s42, v89 op_sel_hi:[0,1,1] neg_lo:[0,0,1] neg_hi:[0,0,1]
	v_pk_add_f16 v72, v73, v72
	v_pk_fma_f16 v73, v76, s10, v106 op_sel_hi:[0,1,1] neg_lo:[0,0,1] neg_hi:[0,0,1]
	v_pk_add_f16 v73, v73, v27 op_sel_hi:[1,0]
	v_pk_fma_f16 v74, v77, s16, v107 op_sel_hi:[0,1,1] neg_lo:[0,0,1] neg_hi:[0,0,1]
	v_pk_add_f16 v73, v74, v73
	v_pk_fma_f16 v74, v78, s20, v108 op_sel_hi:[0,1,1] neg_lo:[0,0,1] neg_hi:[0,0,1]
	v_pk_add_f16 v73, v74, v73
	v_pk_fma_f16 v74, v80, s24, v109 op_sel_hi:[0,1,1] neg_lo:[0,0,1] neg_hi:[0,0,1]
	v_pk_add_f16 v73, v74, v73
	v_pk_fma_f16 v74, v82, s28, v110 op_sel_hi:[0,1,1] neg_lo:[0,0,1] neg_hi:[0,0,1]
	v_pk_add_f16 v73, v74, v73
	v_pk_fma_f16 v74, v84, s33, v111 op_sel_hi:[0,1,1] neg_lo:[0,0,1] neg_hi:[0,0,1]
	v_pk_add_f16 v73, v74, v73
	v_pk_fma_f16 v74, v86, s37, v112 op_sel_hi:[0,1,1] neg_lo:[0,0,1] neg_hi:[0,0,1]
	v_pk_add_f16 v73, v74, v73
	v_pk_fma_f16 v74, v88, s41, v113 op_sel_hi:[0,1,1] neg_lo:[0,0,1] neg_hi:[0,0,1]
	v_pk_add_f16 v73, v74, v73
	;; [unrolled: 16-line block ×4, first 2 shown]
	v_alignbit_b32 v72, v72, v72, 16
	v_alignbit_b32 v73, v73, v73, 16
	v_alignbit_b32 v74, v74, v74, 16
	v_alignbit_b32 v75, v27, v27, 16
	v_cmp_gt_u32_e64 s[0:1], 30, v4
	ds_write_b128 v71, v[72:75] offset:18
	s_and_saveexec_b64 s[4:5], s[0:1]
	s_cbranch_execz .LBB0_15
; %bb.14:
	v_add_f16_e32 v27, v53, v17
	v_add_f16_e32 v27, v27, v16
	;; [unrolled: 1-line block ×16, first 2 shown]
	v_sub_f16_e32 v75, v46, v52
	v_add_f16_e32 v76, v17, v42
	v_sub_f16_e32 v78, v45, v51
	ds_write_b16 v71, v27 offset:1734
	v_pk_mul_f16 v27, v75, s43 op_sel_hi:[0,1]
	v_add_f16_e32 v77, v16, v35
	v_sub_f16_e32 v80, v44, v50
	v_pk_mul_f16 v91, v78, s47 op_sel_hi:[0,1]
	v_pk_fma_f16 v72, v76, s6, v27 op_sel_hi:[0,1,1]
	v_add_f16_e32 v79, v15, v34
	v_sub_f16_e32 v82, v41, v49
	v_pk_mul_f16 v92, v80, s51 op_sel_hi:[0,1]
	v_pk_add_f16 v72, v53, v72 op_sel_hi:[0,1]
	v_pk_fma_f16 v73, v77, s14, v91 op_sel_hi:[0,1,1]
	v_add_f16_e32 v81, v14, v33
	v_sub_f16_e32 v84, v40, v48
	v_pk_mul_f16 v93, v82, s55 op_sel_hi:[0,1]
	v_pk_add_f16 v72, v72, v73
	v_pk_fma_f16 v73, v79, s18, v92 op_sel_hi:[0,1,1]
	v_add_f16_e32 v83, v13, v32
	v_sub_f16_e32 v86, v39, v47
	v_pk_mul_f16 v94, v84, s59 op_sel_hi:[0,1]
	v_pk_add_f16 v72, v72, v73
	;; [unrolled: 5-line block ×4, first 2 shown]
	v_pk_fma_f16 v73, v85, s30, v95 op_sel_hi:[0,1,1]
	v_add_f16_e32 v89, v28, v29
	v_pk_mul_f16 v97, v90, s71 op_sel_hi:[0,1]
	v_pk_add_f16 v72, v72, v73
	v_pk_fma_f16 v73, v87, s35, v96 op_sel_hi:[0,1,1]
	v_pk_add_f16 v72, v72, v73
	v_pk_fma_f16 v73, v89, s39, v97 op_sel_hi:[0,1,1]
	v_pk_mul_f16 v98, v75, s44 op_sel_hi:[0,1]
	v_pk_add_f16 v72, v73, v72
	v_pk_mul_f16 v99, v78, s48 op_sel_hi:[0,1]
	v_pk_fma_f16 v73, v76, s7, v98 op_sel_hi:[0,1,1]
	v_pk_mul_f16 v100, v80, s52 op_sel_hi:[0,1]
	v_pk_add_f16 v73, v53, v73 op_sel_hi:[0,1]
	v_pk_fma_f16 v74, v77, s15, v99 op_sel_hi:[0,1,1]
	v_pk_mul_f16 v101, v82, s56 op_sel_hi:[0,1]
	v_pk_add_f16 v73, v73, v74
	v_pk_fma_f16 v74, v79, s19, v100 op_sel_hi:[0,1,1]
	v_pk_mul_f16 v102, v84, s60 op_sel_hi:[0,1]
	v_pk_add_f16 v73, v73, v74
	;; [unrolled: 3-line block ×5, first 2 shown]
	v_pk_fma_f16 v74, v87, s36, v104 op_sel_hi:[0,1,1]
	v_pk_add_f16 v73, v73, v74
	v_pk_fma_f16 v74, v89, s40, v105 op_sel_hi:[0,1,1]
	v_pk_mul_f16 v106, v75, s45 op_sel_hi:[0,1]
	v_pk_add_f16 v73, v74, v73
	v_pk_mul_f16 v107, v78, s49 op_sel_hi:[0,1]
	v_pk_fma_f16 v74, v76, s10, v106 op_sel_hi:[0,1,1]
	v_pk_mul_f16 v108, v80, s53 op_sel_hi:[0,1]
	v_pk_add_f16 v74, v53, v74 op_sel_hi:[0,1]
	v_pk_fma_f16 v114, v77, s16, v107 op_sel_hi:[0,1,1]
	v_pk_mul_f16 v109, v82, s57 op_sel_hi:[0,1]
	v_pk_add_f16 v74, v74, v114
	v_pk_fma_f16 v114, v79, s20, v108 op_sel_hi:[0,1,1]
	v_pk_mul_f16 v110, v84, s61 op_sel_hi:[0,1]
	v_pk_add_f16 v74, v74, v114
	;; [unrolled: 3-line block ×5, first 2 shown]
	v_pk_fma_f16 v114, v87, s37, v112 op_sel_hi:[0,1,1]
	v_pk_add_f16 v74, v74, v114
	v_pk_fma_f16 v114, v89, s41, v113 op_sel_hi:[0,1,1]
	v_pk_add_f16 v74, v114, v74
	v_pk_mul_f16 v114, v75, s46 op_sel_hi:[0,1]
	v_pk_mul_f16 v78, v78, s50 op_sel_hi:[0,1]
	v_pk_fma_f16 v75, v76, s11, v114 op_sel_hi:[0,1,1]
	v_pk_mul_f16 v80, v80, s54 op_sel_hi:[0,1]
	v_pk_add_f16 v75, v53, v75 op_sel_hi:[0,1]
	v_pk_fma_f16 v115, v77, s17, v78 op_sel_hi:[0,1,1]
	v_pk_mul_f16 v82, v82, s58 op_sel_hi:[0,1]
	v_pk_add_f16 v75, v75, v115
	v_pk_fma_f16 v115, v79, s21, v80 op_sel_hi:[0,1,1]
	v_pk_mul_f16 v84, v84, s62 op_sel_hi:[0,1]
	v_pk_add_f16 v75, v75, v115
	v_pk_fma_f16 v115, v81, s25, v82 op_sel_hi:[0,1,1]
	v_pk_mul_f16 v86, v86, s66 op_sel_hi:[0,1]
	v_pk_add_f16 v75, v75, v115
	v_pk_fma_f16 v115, v83, s29, v84 op_sel_hi:[0,1,1]
	v_pk_mul_f16 v88, v88, s70 op_sel_hi:[0,1]
	v_pk_add_f16 v75, v75, v115
	v_pk_fma_f16 v115, v85, s34, v86 op_sel_hi:[0,1,1]
	v_pk_mul_f16 v90, v90, s74 op_sel_hi:[0,1]
	v_pk_add_f16 v75, v75, v115
	v_pk_fma_f16 v115, v87, s38, v88 op_sel_hi:[0,1,1]
	v_pk_add_f16 v75, v75, v115
	v_pk_fma_f16 v115, v89, s42, v90 op_sel_hi:[0,1,1]
	v_pk_add_f16 v75, v115, v75
	ds_write_b128 v71, v[72:75] offset:1736
	v_pk_fma_f16 v72, v76, s11, v114 op_sel_hi:[0,1,1] neg_lo:[0,0,1] neg_hi:[0,0,1]
	v_pk_add_f16 v72, v53, v72 op_sel_hi:[0,1]
	v_pk_fma_f16 v73, v77, s17, v78 op_sel_hi:[0,1,1] neg_lo:[0,0,1] neg_hi:[0,0,1]
	v_pk_add_f16 v72, v72, v73
	v_pk_fma_f16 v73, v79, s21, v80 op_sel_hi:[0,1,1] neg_lo:[0,0,1] neg_hi:[0,0,1]
	v_pk_add_f16 v72, v72, v73
	;; [unrolled: 2-line block ×7, first 2 shown]
	v_pk_fma_f16 v73, v76, s10, v106 op_sel_hi:[0,1,1] neg_lo:[0,0,1] neg_hi:[0,0,1]
	v_pk_add_f16 v73, v53, v73 op_sel_hi:[0,1]
	v_pk_fma_f16 v74, v77, s16, v107 op_sel_hi:[0,1,1] neg_lo:[0,0,1] neg_hi:[0,0,1]
	v_pk_add_f16 v73, v73, v74
	v_pk_fma_f16 v74, v79, s20, v108 op_sel_hi:[0,1,1] neg_lo:[0,0,1] neg_hi:[0,0,1]
	v_pk_add_f16 v73, v73, v74
	;; [unrolled: 2-line block ×7, first 2 shown]
	v_pk_fma_f16 v74, v76, s7, v98 op_sel_hi:[0,1,1] neg_lo:[0,0,1] neg_hi:[0,0,1]
	v_pk_fma_f16 v27, v76, s6, v27 op_sel_hi:[0,1,1] neg_lo:[0,0,1] neg_hi:[0,0,1]
	v_pk_add_f16 v74, v53, v74 op_sel_hi:[0,1]
	v_pk_fma_f16 v75, v77, s15, v99 op_sel_hi:[0,1,1] neg_lo:[0,0,1] neg_hi:[0,0,1]
	v_pk_add_f16 v27, v53, v27 op_sel_hi:[0,1]
	v_pk_fma_f16 v53, v77, s14, v91 op_sel_hi:[0,1,1] neg_lo:[0,0,1] neg_hi:[0,0,1]
	v_pk_add_f16 v74, v74, v75
	v_pk_fma_f16 v75, v79, s19, v100 op_sel_hi:[0,1,1] neg_lo:[0,0,1] neg_hi:[0,0,1]
	v_pk_add_f16 v27, v27, v53
	;; [unrolled: 2-line block ×13, first 2 shown]
	v_pk_add_f16 v27, v53, v27
	v_alignbit_b32 v72, v72, v72, 16
	v_alignbit_b32 v73, v73, v73, 16
	;; [unrolled: 1-line block ×4, first 2 shown]
	ds_write_b128 v71, v[72:75] offset:1752
.LBB0_15:
	s_or_b64 exec, exec, s[4:5]
	v_add_f16_e32 v27, v54, v55
	v_add_f16_e32 v27, v27, v56
	;; [unrolled: 1-line block ×15, first 2 shown]
	v_sub_f16_e32 v2, v2, v26
	v_add_f16_e32 v76, v27, v70
	v_add_f16_e32 v27, v55, v70
	v_sub_f16_e32 v3, v3, v25
	v_sub_f16_e32 v18, v18, v19
	v_pk_mul_f16 v19, v2, s43 op_sel_hi:[0,1]
	v_add_f16_e32 v26, v56, v69
	v_pk_fma_f16 v53, v27, s6, v19 op_sel_hi:[0,1,1] neg_lo:[0,0,1] neg_hi:[0,0,1]
	v_pk_mul_f16 v55, v3, s47 op_sel_hi:[0,1]
	v_sub_f16_e32 v5, v5, v24
	v_pk_add_f16 v53, v53, v54 op_sel_hi:[1,0]
	v_pk_fma_f16 v56, v26, s14, v55 op_sel_hi:[0,1,1] neg_lo:[0,0,1] neg_hi:[0,0,1]
	v_add_f16_e32 v25, v57, v68
	v_pk_add_f16 v53, v56, v53
	v_pk_mul_f16 v56, v5, s51 op_sel_hi:[0,1]
	v_sub_f16_e32 v6, v6, v23
	v_pk_fma_f16 v57, v25, s18, v56 op_sel_hi:[0,1,1] neg_lo:[0,0,1] neg_hi:[0,0,1]
	v_add_f16_e32 v24, v58, v67
	v_pk_add_f16 v53, v57, v53
	v_pk_mul_f16 v57, v6, s55 op_sel_hi:[0,1]
	v_sub_f16_e32 v7, v7, v22
	;; [unrolled: 5-line block ×4, first 2 shown]
	v_pk_fma_f16 v60, v22, s30, v59 op_sel_hi:[0,1,1] neg_lo:[0,0,1] neg_hi:[0,0,1]
	v_add_f16_e32 v21, v61, v64
	v_pk_add_f16 v53, v60, v53
	v_pk_mul_f16 v60, v9, s67 op_sel_hi:[0,1]
	v_pk_fma_f16 v61, v21, s35, v60 op_sel_hi:[0,1,1] neg_lo:[0,0,1] neg_hi:[0,0,1]
	v_add_f16_e32 v20, v62, v63
	v_pk_add_f16 v53, v61, v53
	v_pk_mul_f16 v61, v18, s71 op_sel_hi:[0,1]
	v_pk_fma_f16 v62, v20, s39, v61 op_sel_hi:[0,1,1] neg_lo:[0,0,1] neg_hi:[0,0,1]
	v_pk_fma_f16 v19, v27, s6, v19 op_sel_hi:[0,1,1]
	v_pk_add_f16 v72, v62, v53
	v_pk_add_f16 v19, v19, v54 op_sel_hi:[1,0]
	v_pk_fma_f16 v53, v26, s14, v55 op_sel_hi:[0,1,1]
	v_pk_add_f16 v19, v53, v19
	v_pk_fma_f16 v53, v25, s18, v56 op_sel_hi:[0,1,1]
	v_pk_add_f16 v19, v53, v19
	;; [unrolled: 2-line block ×7, first 2 shown]
	v_pk_mul_f16 v19, v2, s44 op_sel_hi:[0,1]
	v_pk_fma_f16 v53, v27, s7, v19 op_sel_hi:[0,1,1] neg_lo:[0,0,1] neg_hi:[0,0,1]
	v_pk_mul_f16 v55, v3, s48 op_sel_hi:[0,1]
	v_pk_add_f16 v53, v53, v54 op_sel_hi:[1,0]
	v_pk_fma_f16 v56, v26, s15, v55 op_sel_hi:[0,1,1] neg_lo:[0,0,1] neg_hi:[0,0,1]
	v_pk_add_f16 v53, v56, v53
	v_pk_mul_f16 v56, v5, s52 op_sel_hi:[0,1]
	v_pk_fma_f16 v57, v25, s19, v56 op_sel_hi:[0,1,1] neg_lo:[0,0,1] neg_hi:[0,0,1]
	v_pk_add_f16 v53, v57, v53
	v_pk_mul_f16 v57, v6, s56 op_sel_hi:[0,1]
	;; [unrolled: 3-line block ×6, first 2 shown]
	v_pk_fma_f16 v62, v20, s40, v61 op_sel_hi:[0,1,1] neg_lo:[0,0,1] neg_hi:[0,0,1]
	v_pk_fma_f16 v19, v27, s7, v19 op_sel_hi:[0,1,1]
	v_pk_add_f16 v73, v62, v53
	v_pk_add_f16 v19, v19, v54 op_sel_hi:[1,0]
	v_pk_fma_f16 v53, v26, s15, v55 op_sel_hi:[0,1,1]
	v_pk_add_f16 v19, v53, v19
	v_pk_fma_f16 v53, v25, s19, v56 op_sel_hi:[0,1,1]
	v_pk_add_f16 v19, v53, v19
	;; [unrolled: 2-line block ×7, first 2 shown]
	v_pk_mul_f16 v19, v2, s45 op_sel_hi:[0,1]
	v_pk_fma_f16 v53, v27, s10, v19 op_sel_hi:[0,1,1] neg_lo:[0,0,1] neg_hi:[0,0,1]
	v_pk_mul_f16 v55, v3, s49 op_sel_hi:[0,1]
	v_pk_add_f16 v53, v53, v54 op_sel_hi:[1,0]
	v_pk_fma_f16 v56, v26, s16, v55 op_sel_hi:[0,1,1] neg_lo:[0,0,1] neg_hi:[0,0,1]
	v_pk_add_f16 v53, v56, v53
	v_pk_mul_f16 v56, v5, s53 op_sel_hi:[0,1]
	v_pk_fma_f16 v57, v25, s20, v56 op_sel_hi:[0,1,1] neg_lo:[0,0,1] neg_hi:[0,0,1]
	v_pk_add_f16 v53, v57, v53
	v_pk_mul_f16 v57, v6, s57 op_sel_hi:[0,1]
	;; [unrolled: 3-line block ×6, first 2 shown]
	v_pk_fma_f16 v62, v20, s41, v61 op_sel_hi:[0,1,1] neg_lo:[0,0,1] neg_hi:[0,0,1]
	v_pk_fma_f16 v19, v27, s10, v19 op_sel_hi:[0,1,1]
	v_pk_add_f16 v74, v62, v53
	v_pk_add_f16 v19, v19, v54 op_sel_hi:[1,0]
	v_pk_fma_f16 v53, v26, s16, v55 op_sel_hi:[0,1,1]
	v_pk_add_f16 v19, v53, v19
	v_pk_fma_f16 v53, v25, s20, v56 op_sel_hi:[0,1,1]
	v_pk_add_f16 v19, v53, v19
	;; [unrolled: 2-line block ×6, first 2 shown]
	v_pk_fma_f16 v53, v20, s41, v61 op_sel_hi:[0,1,1]
	v_pk_mul_f16 v2, v2, s46 op_sel_hi:[0,1]
	v_pk_add_f16 v70, v53, v19
	v_pk_fma_f16 v19, v27, s11, v2 op_sel_hi:[0,1,1] neg_lo:[0,0,1] neg_hi:[0,0,1]
	v_pk_mul_f16 v3, v3, s50 op_sel_hi:[0,1]
	v_pk_fma_f16 v2, v27, s11, v2 op_sel_hi:[0,1,1]
	v_pk_fma_f16 v53, v26, s17, v3 op_sel_hi:[0,1,1] neg_lo:[0,0,1] neg_hi:[0,0,1]
	v_pk_mul_f16 v5, v5, s54 op_sel_hi:[0,1]
	v_pk_add_f16 v2, v2, v54 op_sel_hi:[1,0]
	v_pk_fma_f16 v3, v26, s17, v3 op_sel_hi:[0,1,1]
	v_pk_mul_f16 v6, v6, s58 op_sel_hi:[0,1]
	v_pk_add_f16 v2, v3, v2
	v_pk_fma_f16 v3, v25, s21, v5 op_sel_hi:[0,1,1]
	v_pk_add_f16 v19, v19, v54 op_sel_hi:[1,0]
	v_pk_mul_f16 v7, v7, s62 op_sel_hi:[0,1]
	v_pk_add_f16 v2, v3, v2
	v_pk_fma_f16 v3, v24, s25, v6 op_sel_hi:[0,1,1]
	v_pk_add_f16 v19, v53, v19
	v_pk_fma_f16 v53, v25, s21, v5 op_sel_hi:[0,1,1] neg_lo:[0,0,1] neg_hi:[0,0,1]
	v_pk_mul_f16 v8, v8, s66 op_sel_hi:[0,1]
	v_pk_add_f16 v2, v3, v2
	v_pk_fma_f16 v3, v23, s29, v7 op_sel_hi:[0,1,1]
	v_pk_add_f16 v19, v53, v19
	v_pk_fma_f16 v53, v24, s25, v6 op_sel_hi:[0,1,1] neg_lo:[0,0,1] neg_hi:[0,0,1]
	;; [unrolled: 5-line block ×4, first 2 shown]
	v_pk_add_f16 v2, v3, v2
	v_pk_fma_f16 v3, v20, s42, v18 op_sel_hi:[0,1,1]
	v_pk_add_f16 v19, v53, v19
	v_pk_fma_f16 v53, v21, s38, v9 op_sel_hi:[0,1,1] neg_lo:[0,0,1] neg_hi:[0,0,1]
	v_pk_add_f16 v6, v3, v2
	v_lshlrev_b32_e32 v2, 5, v4
	v_pk_add_f16 v19, v53, v19
	v_pk_fma_f16 v53, v20, s42, v18 op_sel_hi:[0,1,1] neg_lo:[0,0,1] neg_hi:[0,0,1]
	v_sub_u32_e32 v9, v71, v2
	v_pk_add_f16 v75, v53, v19
	s_waitcnt lgkmcnt(0)
	; wave barrier
	s_waitcnt lgkmcnt(0)
	ds_read_u16 v62, v9 offset:1938
	ds_read_u16 v61, v9 offset:2040
	;; [unrolled: 1-line block ×11, first 2 shown]
	ds_read_u16 v24, v9
	ds_read_u16 v23, v9 offset:102
	ds_read_u16 v22, v9 offset:204
	;; [unrolled: 1-line block ×15, first 2 shown]
	v_add_u32_e32 v5, 51, v4
	s_waitcnt lgkmcnt(0)
	; wave barrier
	s_waitcnt lgkmcnt(0)
	ds_write_b16 v71, v76
	ds_write_b128 v71, v[72:75] offset:2
	v_alignbit_b32 v72, v6, v6, 16
	v_alignbit_b32 v73, v70, v70, 16
	;; [unrolled: 1-line block ×4, first 2 shown]
	ds_write_b128 v71, v[72:75] offset:18
	s_and_saveexec_b64 s[4:5], s[0:1]
	s_cbranch_execz .LBB0_17
; %bb.16:
	v_add_f16_e32 v6, v10, v46
	v_add_f16_e32 v6, v6, v45
	;; [unrolled: 1-line block ×4, first 2 shown]
	v_sub_f16_e32 v8, v17, v42
	s_mov_b32 s1, 0xb964b5c8
	v_add_f16_e32 v6, v6, v40
	v_add_f16_e32 v7, v46, v52
	v_sub_f16_e32 v16, v16, v35
	v_sub_f16_e32 v31, v12, v31
	s_mov_b32 s0, 0x39e93b76
	v_pk_mul_f16 v12, v8, s1 op_sel_hi:[0,1]
	s_mov_b32 s6, 0xbbf7b964
	v_add_f16_e32 v6, v6, v39
	v_add_f16_e32 v17, v45, v51
	v_sub_f16_e32 v32, v13, v32
	v_sub_f16_e32 v30, v11, v30
	v_pk_fma_f16 v11, v7, s0, v12 op_sel_hi:[0,1,1] neg_lo:[0,0,1] neg_hi:[0,0,1]
	s_mov_b32 s1, 0x2de839e9
	v_pk_mul_f16 v13, v16, s6 op_sel_hi:[0,1]
	v_add_f16_e32 v6, v6, v37
	v_sub_f16_e32 v15, v15, v34
	v_sub_f16_e32 v28, v28, v29
	v_pk_add_f16 v11, v10, v11 op_sel_hi:[0,1]
	v_pk_fma_f16 v29, v17, s1, v13 op_sel_hi:[0,1,1] neg_lo:[0,0,1] neg_hi:[0,0,1]
	s_mov_b32 s7, 0xba62bb29
	v_add_f16_e32 v6, v6, v36
	v_add_f16_e32 v35, v44, v50
	v_pk_add_f16 v11, v11, v29
	s_mov_b32 s6, 0xb8d23722
	v_pk_mul_f16 v29, v15, s7 op_sel_hi:[0,1]
	v_add_f16_e32 v6, v6, v38
	v_sub_f16_e32 v14, v14, v33
	v_add_f16_e32 v36, v36, v38
	v_pk_fma_f16 v38, v35, s6, v29 op_sel_hi:[0,1,1] neg_lo:[0,0,1] neg_hi:[0,0,1]
	s_mov_b32 s10, 0xb1e1bbf7
	v_add_f16_e32 v34, v41, v49
	v_pk_add_f16 v11, v11, v38
	s_mov_b32 s7, 0xbbdd2de8
	v_pk_mul_f16 v38, v14, s10 op_sel_hi:[0,1]
	v_add_f16_e32 v33, v40, v48
	v_pk_fma_f16 v40, v34, s7, v38 op_sel_hi:[0,1,1] neg_lo:[0,0,1] neg_hi:[0,0,1]
	s_mov_b32 s11, 0x3836bbb2
	v_pk_add_f16 v11, v11, v40
	s_mov_b32 s10, 0xbacdb461
	v_pk_mul_f16 v40, v32, s11 op_sel_hi:[0,1]
	v_pk_fma_f16 v12, v7, s0, v12 op_sel_hi:[0,1,1]
	v_pk_fma_f16 v41, v33, s10, v40 op_sel_hi:[0,1,1] neg_lo:[0,0,1] neg_hi:[0,0,1]
	s_mov_b32 s14, 0x3bb2ba62
	v_pk_add_f16 v12, v10, v12 op_sel_hi:[0,1]
	v_pk_fma_f16 v13, v17, s1, v13 op_sel_hi:[0,1,1]
	v_add_f16_e32 v39, v39, v47
	v_pk_add_f16 v11, v11, v41
	s_mov_b32 s11, 0xb461b8d2
	v_pk_mul_f16 v41, v31, s14 op_sel_hi:[0,1]
	v_pk_add_f16 v12, v12, v13
	v_pk_fma_f16 v13, v35, s6, v29 op_sel_hi:[0,1,1]
	v_pk_fma_f16 v42, v39, s11, v41 op_sel_hi:[0,1,1] neg_lo:[0,0,1] neg_hi:[0,0,1]
	s_mov_b32 s15, 0x3b29b836
	v_pk_add_f16 v12, v12, v13
	v_pk_fma_f16 v13, v34, s7, v38 op_sel_hi:[0,1,1]
	v_add_f16_e32 v37, v37, v43
	v_pk_add_f16 v11, v11, v42
	s_mov_b32 s14, 0x3722bacd
	v_pk_mul_f16 v42, v30, s15 op_sel_hi:[0,1]
	v_pk_add_f16 v12, v12, v13
	v_pk_fma_f16 v13, v33, s10, v40 op_sel_hi:[0,1,1]
	v_add_f16_e32 v6, v6, v43
	v_pk_fma_f16 v43, v37, s14, v42 op_sel_hi:[0,1,1] neg_lo:[0,0,1] neg_hi:[0,0,1]
	s_mov_b32 s16, 0x35c8b1e1
	v_pk_add_f16 v12, v12, v13
	v_pk_fma_f16 v13, v39, s11, v41 op_sel_hi:[0,1,1]
	v_pk_add_f16 v11, v11, v43
	s_mov_b32 s15, 0x3b76bbdd
	v_pk_mul_f16 v43, v28, s16 op_sel_hi:[0,1]
	v_pk_add_f16 v12, v12, v13
	v_pk_fma_f16 v13, v37, s14, v42 op_sel_hi:[0,1,1]
	v_pk_add_f16 v12, v12, v13
	v_pk_fma_f16 v13, v36, s15, v43 op_sel_hi:[0,1,1]
	s_mov_b32 s1, 0xbbf7bb29
	v_pk_add_f16 v29, v13, v12
	s_mov_b32 s0, 0x2de83722
	v_pk_mul_f16 v13, v8, s1 op_sel_hi:[0,1]
	s_mov_b32 s6, 0xb1e1ba62
	v_pk_fma_f16 v12, v7, s0, v13 op_sel_hi:[0,1,1] neg_lo:[0,0,1] neg_hi:[0,0,1]
	s_mov_b32 s1, 0xbbddb8d2
	v_pk_mul_f16 v38, v16, s6 op_sel_hi:[0,1]
	v_pk_add_f16 v12, v10, v12 op_sel_hi:[0,1]
	v_pk_fma_f16 v40, v17, s1, v38 op_sel_hi:[0,1,1] neg_lo:[0,0,1] neg_hi:[0,0,1]
	s_mov_b32 s7, 0x3bb231e1
	v_pk_add_f16 v12, v12, v40
	s_mov_b32 s6, 0xb461bbdd
	v_pk_mul_f16 v40, v15, s7 op_sel_hi:[0,1]
	v_pk_fma_f16 v41, v35, s6, v40 op_sel_hi:[0,1,1] neg_lo:[0,0,1] neg_hi:[0,0,1]
	s_mov_b32 s10, 0x35c83bb2
	v_pk_add_f16 v12, v12, v41
	s_mov_b32 s7, 0x3b76b461
	v_pk_mul_f16 v41, v14, s10 op_sel_hi:[0,1]
	;; [unrolled: 5-line block ×3, first 2 shown]
	v_pk_fma_f16 v13, v7, s0, v13 op_sel_hi:[0,1,1]
	v_pk_fma_f16 v44, v36, s15, v43 op_sel_hi:[0,1,1] neg_lo:[0,0,1] neg_hi:[0,0,1]
	v_pk_fma_f16 v43, v33, s10, v42 op_sel_hi:[0,1,1] neg_lo:[0,0,1] neg_hi:[0,0,1]
	s_mov_b32 s14, 0xb836b5c8
	v_pk_add_f16 v13, v10, v13 op_sel_hi:[0,1]
	v_pk_fma_f16 v38, v17, s1, v38 op_sel_hi:[0,1,1]
	v_pk_add_f16 v12, v12, v43
	s_mov_b32 s11, 0xbacd3b76
	v_pk_mul_f16 v43, v31, s14 op_sel_hi:[0,1]
	v_pk_add_f16 v13, v13, v38
	v_pk_fma_f16 v38, v35, s6, v40 op_sel_hi:[0,1,1]
	v_pk_add_f16 v11, v44, v11
	v_pk_fma_f16 v44, v39, s11, v43 op_sel_hi:[0,1,1] neg_lo:[0,0,1] neg_hi:[0,0,1]
	s_mov_b32 s15, 0x3a62bbf7
	v_pk_add_f16 v13, v13, v38
	v_pk_fma_f16 v38, v34, s7, v41 op_sel_hi:[0,1,1]
	v_pk_add_f16 v12, v12, v44
	s_mov_b32 s14, 0xb8d22de8
	v_pk_mul_f16 v44, v30, s15 op_sel_hi:[0,1]
	v_pk_add_f16 v13, v13, v38
	v_pk_fma_f16 v38, v33, s10, v42 op_sel_hi:[0,1,1]
	v_pk_fma_f16 v45, v37, s14, v44 op_sel_hi:[0,1,1] neg_lo:[0,0,1] neg_hi:[0,0,1]
	s_mov_b32 s16, 0x3964b836
	v_pk_add_f16 v13, v13, v38
	v_pk_fma_f16 v38, v39, s11, v43 op_sel_hi:[0,1,1]
	v_pk_add_f16 v12, v12, v45
	s_mov_b32 s15, 0x39e9bacd
	v_pk_mul_f16 v45, v28, s16 op_sel_hi:[0,1]
	v_pk_add_f16 v13, v13, v38
	v_pk_fma_f16 v38, v37, s14, v44 op_sel_hi:[0,1,1]
	s_mov_b32 s1, 0xba62bbb2
	v_pk_add_f16 v13, v13, v38
	v_pk_fma_f16 v38, v36, s15, v45 op_sel_hi:[0,1,1]
	s_mov_b32 s0, 0xb8d2b461
	v_pk_mul_f16 v40, v8, s1 op_sel_hi:[0,1]
	s_mov_b32 s6, 0x3bb23836
	v_pk_add_f16 v38, v38, v13
	v_pk_fma_f16 v13, v7, s0, v40 op_sel_hi:[0,1,1] neg_lo:[0,0,1] neg_hi:[0,0,1]
	s_mov_b32 s1, 0xb461bacd
	v_pk_mul_f16 v41, v16, s6 op_sel_hi:[0,1]
	v_pk_add_f16 v13, v10, v13 op_sel_hi:[0,1]
	v_pk_fma_f16 v42, v17, s1, v41 op_sel_hi:[0,1,1] neg_lo:[0,0,1] neg_hi:[0,0,1]
	s_mov_b32 s7, 0xb5c83964
	v_pk_add_f16 v13, v13, v42
	s_mov_b32 s6, 0x3b7639e9
	v_pk_mul_f16 v42, v15, s7 op_sel_hi:[0,1]
	v_pk_fma_f16 v43, v35, s6, v42 op_sel_hi:[0,1,1] neg_lo:[0,0,1] neg_hi:[0,0,1]
	s_mov_b32 s10, 0xb836bb29
	v_pk_add_f16 v13, v13, v43
	s_mov_b32 s7, 0xbacd3722
	v_pk_mul_f16 v43, v14, s10 op_sel_hi:[0,1]
	;; [unrolled: 5-line block ×3, first 2 shown]
	v_pk_fma_f16 v40, v7, s0, v40 op_sel_hi:[0,1,1]
	v_pk_fma_f16 v46, v36, s15, v45 op_sel_hi:[0,1,1] neg_lo:[0,0,1] neg_hi:[0,0,1]
	v_pk_fma_f16 v45, v33, s10, v44 op_sel_hi:[0,1,1] neg_lo:[0,0,1] neg_hi:[0,0,1]
	s_mov_b32 s14, 0xb9643bf7
	v_pk_add_f16 v40, v10, v40 op_sel_hi:[0,1]
	v_pk_fma_f16 v41, v17, s1, v41 op_sel_hi:[0,1,1]
	v_pk_add_f16 v13, v13, v45
	s_mov_b32 s11, 0x39e92de8
	v_pk_mul_f16 v45, v31, s14 op_sel_hi:[0,1]
	v_pk_add_f16 v40, v40, v41
	v_pk_fma_f16 v41, v35, s6, v42 op_sel_hi:[0,1,1]
	v_pk_add_f16 v12, v46, v12
	v_pk_fma_f16 v46, v39, s11, v45 op_sel_hi:[0,1,1] neg_lo:[0,0,1] neg_hi:[0,0,1]
	s_mov_b32 s15, 0xb1e1b5c8
	v_pk_add_f16 v40, v40, v41
	v_pk_fma_f16 v41, v34, s7, v43 op_sel_hi:[0,1,1]
	v_pk_add_f16 v13, v13, v46
	s_mov_b32 s14, 0xbbdd3b76
	v_pk_mul_f16 v46, v30, s15 op_sel_hi:[0,1]
	v_pk_add_f16 v40, v40, v41
	v_pk_fma_f16 v41, v33, s10, v44 op_sel_hi:[0,1,1]
	v_add_f16_e32 v6, v47, v6
	v_pk_fma_f16 v47, v37, s14, v46 op_sel_hi:[0,1,1] neg_lo:[0,0,1] neg_hi:[0,0,1]
	s_mov_b32 s16, 0x3b29ba62
	v_pk_add_f16 v40, v40, v41
	v_pk_fma_f16 v41, v39, s11, v45 op_sel_hi:[0,1,1]
	v_pk_add_f16 v13, v13, v47
	s_mov_b32 s15, 0x3722b8d2
	v_pk_mul_f16 v47, v28, s16 op_sel_hi:[0,1]
	v_pk_add_f16 v40, v40, v41
	v_pk_fma_f16 v41, v37, s14, v46 op_sel_hi:[0,1,1]
	s_mov_b32 s1, 0xb1e1b836
	v_pk_add_f16 v40, v40, v41
	v_pk_fma_f16 v41, v36, s15, v47 op_sel_hi:[0,1,1]
	s_mov_b32 s0, 0xbbddbacd
	v_pk_mul_f16 v8, v8, s1 op_sel_hi:[0,1]
	s_mov_b32 s6, 0x35c83b29
	v_pk_add_f16 v40, v41, v40
	v_pk_fma_f16 v41, v7, s0, v8 op_sel_hi:[0,1,1] neg_lo:[0,0,1] neg_hi:[0,0,1]
	s_mov_b32 s1, 0x3b763722
	v_pk_mul_f16 v16, v16, s6 op_sel_hi:[0,1]
	s_mov_b32 s7, 0xb836bbf7
	v_pk_add_f16 v41, v10, v41 op_sel_hi:[0,1]
	v_pk_fma_f16 v42, v17, s1, v16 op_sel_hi:[0,1,1] neg_lo:[0,0,1] neg_hi:[0,0,1]
	s_mov_b32 s6, 0xbacd2de8
	v_pk_mul_f16 v15, v15, s7 op_sel_hi:[0,1]
	v_pk_fma_f16 v7, v7, s0, v8 op_sel_hi:[0,1,1]
	v_pk_add_f16 v41, v41, v42
	v_pk_fma_f16 v42, v35, s6, v15 op_sel_hi:[0,1,1] neg_lo:[0,0,1] neg_hi:[0,0,1]
	s_mov_b32 s10, 0x39643a62
	v_pk_add_f16 v7, v10, v7 op_sel_hi:[0,1]
	v_pk_fma_f16 v8, v17, s1, v16 op_sel_hi:[0,1,1]
	v_pk_add_f16 v41, v41, v42
	s_mov_b32 s7, 0x39e9b8d2
	v_pk_mul_f16 v42, v14, s10 op_sel_hi:[0,1]
	s_mov_b32 s11, 0xba62b5c8
	v_pk_add_f16 v7, v7, v8
	v_pk_fma_f16 v8, v35, s6, v15 op_sel_hi:[0,1,1]
	s_mov_b32 s10, 0xb8d23b76
	v_pk_mul_f16 v32, v32, s11 op_sel_hi:[0,1]
	s_mov_b32 s14, 0x3b29b1e1
	v_pk_add_f16 v7, v7, v8
	v_pk_fma_f16 v8, v34, s7, v42 op_sel_hi:[0,1,1]
	v_add_f16_e32 v6, v48, v6
	v_pk_fma_f16 v48, v36, s15, v47 op_sel_hi:[0,1,1] neg_lo:[0,0,1] neg_hi:[0,0,1]
	v_pk_fma_f16 v14, v34, s7, v42 op_sel_hi:[0,1,1] neg_lo:[0,0,1] neg_hi:[0,0,1]
	s_mov_b32 s11, 0x3722bbdd
	v_pk_mul_f16 v31, v31, s14 op_sel_hi:[0,1]
	s_mov_b32 s15, 0xbbb23964
	v_pk_add_f16 v7, v7, v8
	v_pk_fma_f16 v8, v33, s10, v32 op_sel_hi:[0,1,1]
	v_add_f16_e32 v6, v49, v6
	v_pk_add_f16 v14, v41, v14
	v_pk_fma_f16 v41, v33, s10, v32 op_sel_hi:[0,1,1] neg_lo:[0,0,1] neg_hi:[0,0,1]
	s_mov_b32 s14, 0xb46139e9
	v_pk_mul_f16 v30, v30, s15 op_sel_hi:[0,1]
	s_mov_b32 s16, 0x3bf7bbb2
	v_pk_add_f16 v7, v7, v8
	v_pk_fma_f16 v8, v39, s11, v31 op_sel_hi:[0,1,1]
	v_add_f16_e32 v6, v50, v6
	v_pk_add_f16 v14, v14, v41
	v_pk_fma_f16 v41, v39, s11, v31 op_sel_hi:[0,1,1] neg_lo:[0,0,1] neg_hi:[0,0,1]
	s_mov_b32 s15, 0x2de8b461
	v_pk_mul_f16 v28, v28, s16 op_sel_hi:[0,1]
	v_pk_add_f16 v7, v7, v8
	v_pk_fma_f16 v8, v37, s14, v30 op_sel_hi:[0,1,1]
	v_add_f16_e32 v6, v51, v6
	v_pk_add_f16 v14, v14, v41
	v_pk_fma_f16 v41, v37, s14, v30 op_sel_hi:[0,1,1] neg_lo:[0,0,1] neg_hi:[0,0,1]
	v_pk_add_f16 v7, v7, v8
	v_pk_fma_f16 v8, v36, s15, v28 op_sel_hi:[0,1,1]
	v_add_f16_e32 v6, v52, v6
	v_pk_add_f16 v13, v48, v13
	v_pk_add_f16 v14, v14, v41
	v_pk_fma_f16 v41, v36, s15, v28 op_sel_hi:[0,1,1] neg_lo:[0,0,1] neg_hi:[0,0,1]
	v_pk_add_f16 v7, v8, v7
	v_mad_u32_u24 v8, v5, 34, 0
	v_pk_add_f16 v14, v41, v14
	ds_write_b16 v8, v6
	ds_write_b128 v8, v[11:14] offset:2
	v_alignbit_b32 v10, v7, v7, 16
	v_alignbit_b32 v11, v40, v40, 16
	;; [unrolled: 1-line block ×4, first 2 shown]
	ds_write_b128 v8, v[10:13] offset:18
.LBB0_17:
	s_or_b64 exec, exec, s[4:5]
	s_movk_i32 s0, 0xf1
	v_mul_lo_u16_sdwa v6, v4, s0 dst_sel:DWORD dst_unused:UNUSED_PAD src0_sel:BYTE_0 src1_sel:DWORD
	v_lshrrev_b16_e32 v42, 12, v6
	v_mul_lo_u16_e32 v6, 17, v42
	v_sub_u16_e32 v43, v4, v6
	v_mov_b32_e32 v32, 3
	v_lshlrev_b32_sdwa v6, v32, v43 dst_sel:DWORD dst_unused:UNUSED_PAD src0_sel:DWORD src1_sel:BYTE_0
	v_mul_lo_u16_sdwa v16, v5, s0 dst_sel:DWORD dst_unused:UNUSED_PAD src0_sel:BYTE_0 src1_sel:DWORD
	s_waitcnt lgkmcnt(0)
	; wave barrier
	s_waitcnt lgkmcnt(0)
	global_load_dwordx2 v[14:15], v6, s[8:9]
	v_lshrrev_b16_e32 v44, 12, v16
	v_mul_lo_u16_e32 v16, 17, v44
	v_add_u32_e32 v13, 0x66, v4
	v_sub_u16_e32 v45, v5, v16
	v_lshlrev_b32_sdwa v16, v32, v45 dst_sel:DWORD dst_unused:UNUSED_PAD src0_sel:DWORD src1_sel:BYTE_0
	global_load_dwordx2 v[16:17], v16, s[8:9]
	v_mul_lo_u16_sdwa v28, v13, s0 dst_sel:DWORD dst_unused:UNUSED_PAD src0_sel:BYTE_0 src1_sel:DWORD
	v_add_u32_e32 v12, 0x99, v4
	v_add_u32_e32 v11, 0xcc, v4
	v_lshrrev_b16_e32 v51, 12, v28
	v_add_u32_e32 v10, 0xff, v4
	v_add_u32_e32 v8, 0x132, v4
	;; [unrolled: 1-line block ×4, first 2 shown]
	v_mul_lo_u16_e32 v28, 17, v51
	v_mul_lo_u16_sdwa v30, v12, s0 dst_sel:DWORD dst_unused:UNUSED_PAD src0_sel:BYTE_0 src1_sel:DWORD
	v_mul_lo_u16_sdwa v33, v11, s0 dst_sel:DWORD dst_unused:UNUSED_PAD src0_sel:BYTE_0 src1_sel:DWORD
	s_mov_b32 s0, 0xf0f1
	v_sub_u16_e32 v52, v13, v28
	v_mul_u32_u24_sdwa v34, v10, s0 dst_sel:DWORD dst_unused:UNUSED_PAD src0_sel:WORD_0 src1_sel:DWORD
	v_mul_u32_u24_sdwa v35, v8, s0 dst_sel:DWORD dst_unused:UNUSED_PAD src0_sel:WORD_0 src1_sel:DWORD
	v_mul_u32_u24_sdwa v38, v7, s0 dst_sel:DWORD dst_unused:UNUSED_PAD src0_sel:WORD_0 src1_sel:DWORD
	v_mul_u32_u24_sdwa v40, v6, s0 dst_sel:DWORD dst_unused:UNUSED_PAD src0_sel:WORD_0 src1_sel:DWORD
	v_lshlrev_b32_sdwa v28, v32, v52 dst_sel:DWORD dst_unused:UNUSED_PAD src0_sel:DWORD src1_sel:BYTE_0
	v_lshrrev_b16_e32 v68, 12, v30
	v_lshrrev_b16_e32 v76, 12, v33
	v_lshrrev_b32_e32 v78, 20, v34
	v_lshrrev_b32_e32 v80, 20, v35
	;; [unrolled: 1-line block ×4, first 2 shown]
	ds_read_u16 v46, v9 offset:1938
	ds_read_u16 v47, v9 offset:2040
	;; [unrolled: 1-line block ×5, first 2 shown]
	global_load_dwordx2 v[28:29], v28, s[8:9]
	v_mul_lo_u16_e32 v30, 17, v68
	v_mul_lo_u16_e32 v33, 17, v76
	;; [unrolled: 1-line block ×6, first 2 shown]
	v_sub_u16_e32 v69, v12, v30
	v_sub_u16_e32 v77, v11, v33
	;; [unrolled: 1-line block ×6, first 2 shown]
	v_lshlrev_b32_sdwa v30, v32, v69 dst_sel:DWORD dst_unused:UNUSED_PAD src0_sel:DWORD src1_sel:BYTE_0
	global_load_dwordx2 v[30:31], v30, s[8:9]
	v_lshlrev_b32_sdwa v32, v32, v77 dst_sel:DWORD dst_unused:UNUSED_PAD src0_sel:DWORD src1_sel:BYTE_0
	v_lshlrev_b32_e32 v34, 3, v79
	v_lshlrev_b32_e32 v36, 3, v81
	;; [unrolled: 1-line block ×4, first 2 shown]
	ds_read_u16 v70, v9 offset:1020
	ds_read_u16 v71, v9 offset:1122
	;; [unrolled: 1-line block ×6, first 2 shown]
	global_load_dwordx2 v[32:33], v32, s[8:9]
	v_mov_b32_e32 v102, 1
	global_load_dwordx2 v[34:35], v34, s[8:9]
	s_mov_b32 s4, 0xbaee
	global_load_dwordx2 v[36:37], v36, s[8:9]
	ds_read_u16 v82, v9
	ds_read_u16 v83, v9 offset:102
	ds_read_u16 v84, v9 offset:204
	;; [unrolled: 1-line block ×7, first 2 shown]
	global_load_dwordx2 v[38:39], v38, s[8:9]
	ds_read_u16 v92, v9 offset:1632
	ds_read_u16 v93, v9 offset:918
	;; [unrolled: 1-line block ×3, first 2 shown]
	global_load_dwordx2 v[40:41], v40, s[8:9]
	ds_read_u16 v97, v9 offset:1836
	ds_read_u16 v98, v9 offset:1734
	;; [unrolled: 1-line block ×5, first 2 shown]
	s_movk_i32 s5, 0x3aee
	v_lshlrev_b32_sdwa v43, v102, v43 dst_sel:DWORD dst_unused:UNUSED_PAD src0_sel:DWORD src1_sel:BYTE_0
	v_lshlrev_b32_sdwa v45, v102, v45 dst_sel:DWORD dst_unused:UNUSED_PAD src0_sel:DWORD src1_sel:BYTE_0
	s_waitcnt lgkmcnt(0)
	; wave barrier
	s_waitcnt lgkmcnt(0)
	s_movk_i32 s11, 0x3be1
	s_movk_i32 s7, 0x3579
	s_mov_b32 s10, 0xb924
	s_mov_b32 s6, 0xbb84
	s_waitcnt vmcnt(8)
	v_mul_f16_sdwa v103, v93, v14 dst_sel:DWORD dst_unused:UNUSED_PAD src0_sel:DWORD src1_sel:WORD_1
	v_fma_f16 v103, v67, v14, v103
	v_mul_f16_sdwa v67, v67, v14 dst_sel:DWORD dst_unused:UNUSED_PAD src0_sel:DWORD src1_sel:WORD_1
	v_fma_f16 v14, v93, v14, -v67
	v_mul_f16_sdwa v67, v97, v15 dst_sel:DWORD dst_unused:UNUSED_PAD src0_sel:DWORD src1_sel:WORD_1
	v_fma_f16 v67, v66, v15, v67
	v_mul_f16_sdwa v66, v66, v15 dst_sel:DWORD dst_unused:UNUSED_PAD src0_sel:DWORD src1_sel:WORD_1
	v_fma_f16 v15, v97, v15, -v66
	s_waitcnt vmcnt(7)
	v_mul_f16_sdwa v66, v70, v16 dst_sel:DWORD dst_unused:UNUSED_PAD src0_sel:DWORD src1_sel:WORD_1
	v_fma_f16 v66, v65, v16, v66
	v_mul_f16_sdwa v65, v65, v16 dst_sel:DWORD dst_unused:UNUSED_PAD src0_sel:DWORD src1_sel:WORD_1
	v_fma_f16 v16, v70, v16, -v65
	v_mul_f16_sdwa v65, v46, v17 dst_sel:DWORD dst_unused:UNUSED_PAD src0_sel:DWORD src1_sel:WORD_1
	v_fma_f16 v65, v62, v17, v65
	v_mul_f16_sdwa v62, v62, v17 dst_sel:DWORD dst_unused:UNUSED_PAD src0_sel:DWORD src1_sel:WORD_1
	v_fma_f16 v17, v46, v17, -v62
	v_lshlrev_b32_sdwa v46, v102, v52 dst_sel:DWORD dst_unused:UNUSED_PAD src0_sel:DWORD src1_sel:BYTE_0
	v_add_f16_e32 v70, v103, v67
	s_waitcnt vmcnt(6)
	v_mul_f16_sdwa v52, v71, v28 dst_sel:DWORD dst_unused:UNUSED_PAD src0_sel:DWORD src1_sel:WORD_1
	v_mul_f16_sdwa v62, v64, v28 dst_sel:DWORD dst_unused:UNUSED_PAD src0_sel:DWORD src1_sel:WORD_1
	v_fma_f16 v52, v64, v28, v52
	v_fma_f16 v28, v71, v28, -v62
	v_mul_f16_sdwa v62, v47, v29 dst_sel:DWORD dst_unused:UNUSED_PAD src0_sel:DWORD src1_sel:WORD_1
	v_fma_f16 v62, v61, v29, v62
	v_mul_f16_sdwa v61, v61, v29 dst_sel:DWORD dst_unused:UNUSED_PAD src0_sel:DWORD src1_sel:WORD_1
	v_fma_f16 v29, v47, v29, -v61
	v_lshlrev_b32_sdwa v47, v102, v69 dst_sel:DWORD dst_unused:UNUSED_PAD src0_sel:DWORD src1_sel:BYTE_0
	s_waitcnt vmcnt(5)
	v_mul_f16_sdwa v61, v72, v30 dst_sel:DWORD dst_unused:UNUSED_PAD src0_sel:DWORD src1_sel:WORD_1
	v_fma_f16 v61, v63, v30, v61
	v_mul_f16_sdwa v63, v63, v30 dst_sel:DWORD dst_unused:UNUSED_PAD src0_sel:DWORD src1_sel:WORD_1
	v_fma_f16 v30, v72, v30, -v63
	v_mul_f16_sdwa v63, v48, v31 dst_sel:DWORD dst_unused:UNUSED_PAD src0_sel:DWORD src1_sel:WORD_1
	v_fma_f16 v63, v58, v31, v63
	v_mul_f16_sdwa v58, v58, v31 dst_sel:DWORD dst_unused:UNUSED_PAD src0_sel:DWORD src1_sel:WORD_1
	v_fma_f16 v31, v48, v31, -v58
	s_waitcnt vmcnt(4)
	v_mul_f16_sdwa v58, v73, v32 dst_sel:DWORD dst_unused:UNUSED_PAD src0_sel:DWORD src1_sel:WORD_1
	v_fma_f16 v58, v60, v32, v58
	v_mul_f16_sdwa v60, v60, v32 dst_sel:DWORD dst_unused:UNUSED_PAD src0_sel:DWORD src1_sel:WORD_1
	v_fma_f16 v32, v73, v32, -v60
	v_mul_f16_sdwa v60, v49, v33 dst_sel:DWORD dst_unused:UNUSED_PAD src0_sel:DWORD src1_sel:WORD_1
	v_fma_f16 v60, v55, v33, v60
	v_mul_f16_sdwa v55, v55, v33 dst_sel:DWORD dst_unused:UNUSED_PAD src0_sel:DWORD src1_sel:WORD_1
	s_waitcnt vmcnt(0)
	v_mul_f16_sdwa v69, v98, v40 dst_sel:DWORD dst_unused:UNUSED_PAD src0_sel:DWORD src1_sel:WORD_1
	v_fma_f16 v69, v26, v40, v69
	v_mul_f16_sdwa v26, v26, v40 dst_sel:DWORD dst_unused:UNUSED_PAD src0_sel:DWORD src1_sel:WORD_1
	v_fma_f16 v26, v98, v40, -v26
	v_mul_f16_sdwa v40, v101, v41 dst_sel:DWORD dst_unused:UNUSED_PAD src0_sel:DWORD src1_sel:WORD_1
	v_fma_f16 v40, v25, v41, v40
	v_mul_f16_sdwa v25, v25, v41 dst_sel:DWORD dst_unused:UNUSED_PAD src0_sel:DWORD src1_sel:WORD_1
	v_fma_f16 v25, v101, v41, -v25
	v_add_f16_e32 v41, v24, v103
	v_fma_f16 v24, v70, -0.5, v24
	v_sub_f16_e32 v70, v14, v15
	v_fma_f16 v71, v70, s4, v24
	v_fma_f16 v24, v70, s5, v24
	v_add_f16_e32 v70, v82, v14
	v_add_f16_e32 v14, v14, v15
	;; [unrolled: 1-line block ×3, first 2 shown]
	v_fma_f16 v14, v14, -0.5, v82
	v_sub_f16_e32 v15, v103, v67
	v_add_f16_e32 v41, v41, v67
	v_fma_f16 v67, v15, s5, v14
	v_fma_f16 v72, v15, s4, v14
	v_add_f16_e32 v15, v66, v65
	v_add_f16_e32 v14, v23, v66
	v_fma_f16 v15, v15, -0.5, v23
	v_sub_f16_e32 v23, v16, v17
	v_fma_f16 v33, v49, v33, -v55
	v_mul_f16_sdwa v55, v74, v34 dst_sel:DWORD dst_unused:UNUSED_PAD src0_sel:DWORD src1_sel:WORD_1
	v_fma_f16 v73, v23, s4, v15
	v_fma_f16 v15, v23, s5, v15
	v_add_f16_e32 v23, v83, v16
	v_add_f16_e32 v16, v16, v17
	v_fma_f16 v55, v57, v34, v55
	v_mul_f16_sdwa v57, v57, v34 dst_sel:DWORD dst_unused:UNUSED_PAD src0_sel:DWORD src1_sel:WORD_1
	v_add_f16_e32 v23, v23, v17
	v_fma_f16 v16, v16, -0.5, v83
	v_sub_f16_e32 v17, v66, v65
	v_add_f16_e32 v66, v52, v62
	v_fma_f16 v34, v74, v34, -v57
	v_mul_f16_sdwa v57, v50, v35 dst_sel:DWORD dst_unused:UNUSED_PAD src0_sel:DWORD src1_sel:WORD_1
	v_add_f16_e32 v14, v14, v65
	v_fma_f16 v65, v17, s5, v16
	v_fma_f16 v16, v17, s4, v16
	v_add_f16_e32 v17, v22, v52
	v_fma_f16 v22, v66, -0.5, v22
	v_sub_f16_e32 v66, v28, v29
	v_fma_f16 v57, v27, v35, v57
	v_mul_f16_sdwa v27, v27, v35 dst_sel:DWORD dst_unused:UNUSED_PAD src0_sel:DWORD src1_sel:WORD_1
	v_fma_f16 v74, v66, s4, v22
	v_fma_f16 v22, v66, s5, v22
	v_add_f16_e32 v66, v84, v28
	v_add_f16_e32 v28, v28, v29
	v_fma_f16 v27, v50, v35, -v27
	v_mul_f16_sdwa v50, v75, v36 dst_sel:DWORD dst_unused:UNUSED_PAD src0_sel:DWORD src1_sel:WORD_1
	v_add_f16_e32 v17, v17, v62
	v_add_f16_e32 v66, v66, v29
	v_fma_f16 v28, v28, -0.5, v84
	v_sub_f16_e32 v29, v52, v62
	v_add_f16_e32 v62, v61, v63
	v_fma_f16 v50, v53, v36, v50
	v_mul_f16_sdwa v53, v53, v36 dst_sel:DWORD dst_unused:UNUSED_PAD src0_sel:DWORD src1_sel:WORD_1
	v_fma_f16 v52, v29, s5, v28
	v_fma_f16 v28, v29, s4, v28
	v_add_f16_e32 v29, v21, v61
	v_fma_f16 v21, v62, -0.5, v21
	v_sub_f16_e32 v62, v30, v31
	v_fma_f16 v36, v75, v36, -v53
	v_fma_f16 v75, v62, s4, v21
	v_fma_f16 v21, v62, s5, v21
	v_add_f16_e32 v62, v85, v30
	v_add_f16_e32 v30, v30, v31
	;; [unrolled: 1-line block ×4, first 2 shown]
	v_fma_f16 v30, v30, -0.5, v85
	v_sub_f16_e32 v31, v61, v63
	v_add_f16_e32 v63, v58, v60
	v_fma_f16 v61, v31, s5, v30
	v_fma_f16 v30, v31, s4, v30
	v_add_f16_e32 v31, v20, v58
	v_fma_f16 v20, v63, -0.5, v20
	v_sub_f16_e32 v63, v32, v33
	v_lshlrev_b32_sdwa v48, v102, v77 dst_sel:DWORD dst_unused:UNUSED_PAD src0_sel:DWORD src1_sel:BYTE_0
	v_fma_f16 v77, v63, s4, v20
	v_fma_f16 v20, v63, s5, v20
	v_add_f16_e32 v63, v86, v32
	v_add_f16_e32 v32, v32, v33
	;; [unrolled: 1-line block ×4, first 2 shown]
	v_fma_f16 v32, v32, -0.5, v86
	v_sub_f16_e32 v33, v58, v60
	v_add_f16_e32 v60, v55, v57
	v_fma_f16 v58, v33, s5, v32
	v_fma_f16 v32, v33, s4, v32
	v_add_f16_e32 v33, v19, v55
	v_fma_f16 v19, v60, -0.5, v19
	v_sub_f16_e32 v60, v34, v27
	v_lshlrev_b32_e32 v49, 1, v79
	v_mul_f16_sdwa v53, v99, v37 dst_sel:DWORD dst_unused:UNUSED_PAD src0_sel:DWORD src1_sel:WORD_1
	v_fma_f16 v79, v60, s4, v19
	v_fma_f16 v19, v60, s5, v19
	v_add_f16_e32 v60, v87, v34
	v_fma_f16 v53, v59, v37, v53
	v_mul_f16_sdwa v59, v59, v37 dst_sel:DWORD dst_unused:UNUSED_PAD src0_sel:DWORD src1_sel:WORD_1
	v_mul_f16_sdwa v64, v92, v38 dst_sel:DWORD dst_unused:UNUSED_PAD src0_sel:DWORD src1_sel:WORD_1
	v_add_f16_e32 v60, v60, v27
	v_add_f16_e32 v27, v34, v27
	v_fma_f16 v37, v99, v37, -v59
	v_fma_f16 v64, v54, v38, v64
	v_mul_f16_sdwa v54, v54, v38 dst_sel:DWORD dst_unused:UNUSED_PAD src0_sel:DWORD src1_sel:WORD_1
	v_add_f16_e32 v33, v33, v57
	v_fma_f16 v27, v27, -0.5, v87
	v_sub_f16_e32 v34, v55, v57
	v_add_f16_e32 v57, v50, v53
	v_fma_f16 v38, v92, v38, -v54
	v_mul_f16_sdwa v54, v100, v39 dst_sel:DWORD dst_unused:UNUSED_PAD src0_sel:DWORD src1_sel:WORD_1
	v_fma_f16 v55, v34, s5, v27
	v_fma_f16 v27, v34, s4, v27
	v_add_f16_e32 v34, v18, v50
	v_fma_f16 v18, v57, -0.5, v18
	v_sub_f16_e32 v57, v36, v37
	v_lshlrev_b32_e32 v35, 1, v81
	v_fma_f16 v54, v56, v39, v54
	v_mul_f16_sdwa v56, v56, v39 dst_sel:DWORD dst_unused:UNUSED_PAD src0_sel:DWORD src1_sel:WORD_1
	v_fma_f16 v81, v57, s4, v18
	v_fma_f16 v18, v57, s5, v18
	v_add_f16_e32 v57, v88, v36
	v_add_f16_e32 v36, v36, v37
	v_fma_f16 v39, v100, v39, -v56
	v_add_f16_e32 v34, v34, v53
	v_add_f16_e32 v57, v57, v37
	v_fma_f16 v36, v36, -0.5, v88
	v_sub_f16_e32 v37, v50, v53
	v_add_f16_e32 v53, v64, v54
	v_fma_f16 v50, v37, s5, v36
	v_fma_f16 v36, v37, s4, v36
	v_add_f16_e32 v37, v3, v64
	v_fma_f16 v3, v53, -0.5, v3
	v_sub_f16_e32 v53, v38, v39
	v_fma_f16 v82, v53, s4, v3
	v_fma_f16 v3, v53, s5, v3
	v_add_f16_e32 v53, v89, v38
	v_add_f16_e32 v38, v38, v39
	;; [unrolled: 1-line block ×3, first 2 shown]
	v_fma_f16 v38, v38, -0.5, v89
	v_sub_f16_e32 v39, v64, v54
	v_add_f16_e32 v64, v69, v40
	v_add_f16_e32 v37, v37, v54
	v_fma_f16 v54, v39, s5, v38
	v_fma_f16 v38, v39, s4, v38
	v_add_f16_e32 v39, v2, v69
	v_fma_f16 v2, v64, -0.5, v2
	v_sub_f16_e32 v64, v26, v25
	v_fma_f16 v83, v64, s4, v2
	v_fma_f16 v2, v64, s5, v2
	v_add_f16_e32 v64, v94, v26
	v_add_f16_e32 v64, v64, v25
	v_add_f16_e32 v25, v26, v25
	v_fma_f16 v25, v25, -0.5, v94
	v_sub_f16_e32 v26, v69, v40
	v_add_f16_e32 v39, v39, v40
	v_fma_f16 v40, v26, s5, v25
	v_fma_f16 v25, v26, s4, v25
	v_mul_u32_u24_e32 v26, 0x66, v42
	v_add3_u32 v26, 0, v26, v43
	ds_write_b16 v26, v41
	ds_write_b16 v26, v71 offset:34
	ds_write_b16 v26, v24 offset:68
	v_mul_u32_u24_e32 v24, 0x66, v44
	v_add3_u32 v24, 0, v24, v45
	ds_write_b16 v24, v14
	ds_write_b16 v24, v73 offset:34
	ds_write_b16 v24, v15 offset:68
	v_mul_u32_u24_e32 v14, 0x66, v51
	v_add3_u32 v41, 0, v14, v46
	v_mul_u32_u24_e32 v14, 0x66, v68
	ds_write_b16 v41, v17
	ds_write_b16 v41, v74 offset:34
	ds_write_b16 v41, v22 offset:68
	v_add3_u32 v17, 0, v14, v47
	v_mul_u32_u24_e32 v14, 0x66, v76
	ds_write_b16 v17, v29
	ds_write_b16 v17, v75 offset:34
	ds_write_b16 v17, v21 offset:68
	;; [unrolled: 5-line block ×3, first 2 shown]
	v_add3_u32 v20, 0, v14, v49
	v_mul_u32_u24_e32 v14, 0x66, v80
	v_lshlrev_b32_e32 v59, 1, v91
	ds_write_b16 v20, v33
	ds_write_b16 v20, v79 offset:34
	ds_write_b16 v20, v19 offset:68
	v_add3_u32 v19, 0, v14, v35
	v_mul_u32_u24_e32 v14, 0x66, v90
	ds_write_b16 v19, v34
	ds_write_b16 v19, v81 offset:34
	ds_write_b16 v19, v18 offset:68
	v_add3_u32 v18, 0, v14, v59
	v_lshlrev_b32_e32 v56, 1, v96
	ds_write_b16 v18, v37
	ds_write_b16 v18, v82 offset:34
	ds_write_b16 v18, v3 offset:68
	v_mul_u32_u24_e32 v3, 0x66, v95
	v_add3_u32 v3, 0, v3, v56
	ds_write_b16 v3, v39
	ds_write_b16 v3, v83 offset:34
	ds_write_b16 v3, v2 offset:68
	s_waitcnt lgkmcnt(0)
	; wave barrier
	s_waitcnt lgkmcnt(0)
	ds_read_u16 v33, v9
	ds_read_u16 v15, v9 offset:102
	ds_read_u16 v34, v9 offset:408
	;; [unrolled: 1-line block ×26, first 2 shown]
	s_waitcnt lgkmcnt(0)
	; wave barrier
	s_waitcnt lgkmcnt(0)
	ds_write_b16 v26, v70
	ds_write_b16 v26, v67 offset:34
	ds_write_b16 v26, v72 offset:68
	ds_write_b16 v24, v23
	ds_write_b16 v24, v65 offset:34
	ds_write_b16 v24, v16 offset:68
	;; [unrolled: 3-line block ×9, first 2 shown]
	v_lshlrev_b32_e32 v2, 3, v4
	v_mov_b32_e32 v3, 0
	v_lshlrev_b64 v[16:17], 2, v[2:3]
	v_mov_b32_e32 v2, s9
	v_add_co_u32_e64 v24, s[0:1], s8, v16
	v_addc_co_u32_e64 v25, s[0:1], v2, v17, s[0:1]
	s_waitcnt lgkmcnt(0)
	; wave barrier
	s_waitcnt lgkmcnt(0)
	global_load_dwordx4 v[16:19], v[24:25], off offset:136
	global_load_dwordx4 v[20:23], v[24:25], off offset:152
	s_movk_i32 s0, 0xa1
	v_mul_lo_u16_sdwa v24, v13, s0 dst_sel:DWORD dst_unused:UNUSED_PAD src0_sel:BYTE_0 src1_sel:DWORD
	v_lshrrev_b16_e32 v24, 13, v24
	v_mul_lo_u16_e32 v24, 51, v24
	v_sub_u16_e32 v24, v13, v24
	v_and_b32_e32 v58, 0xff, v24
	v_lshlrev_b32_e32 v28, 5, v58
	ds_read_u16 v2, v9
	ds_read_u16 v32, v9 offset:102
	ds_read_u16 v36, v9 offset:408
	;; [unrolled: 1-line block ×11, first 2 shown]
	global_load_dwordx4 v[24:27], v28, s[8:9] offset:136
	ds_read_u16 v60, v9 offset:1530
	ds_read_u16 v61, v9 offset:1428
	;; [unrolled: 1-line block ×15, first 2 shown]
	global_load_dwordx4 v[28:31], v28, s[8:9] offset:152
	s_movk_i32 s0, 0x3a21
	s_movk_i32 s1, 0x318f
	s_waitcnt lgkmcnt(0)
	; wave barrier
	s_waitcnt vmcnt(3) lgkmcnt(0)
	v_mul_f16_sdwa v84, v55, v16 dst_sel:DWORD dst_unused:UNUSED_PAD src0_sel:DWORD src1_sel:WORD_1
	v_fma_f16 v84, v46, v16, v84
	v_mul_f16_sdwa v46, v46, v16 dst_sel:DWORD dst_unused:UNUSED_PAD src0_sel:DWORD src1_sel:WORD_1
	v_fma_f16 v46, v55, v16, -v46
	v_mul_f16_sdwa v55, v53, v17 dst_sel:DWORD dst_unused:UNUSED_PAD src0_sel:DWORD src1_sel:WORD_1
	v_fma_f16 v55, v44, v17, v55
	v_mul_f16_sdwa v44, v44, v17 dst_sel:DWORD dst_unused:UNUSED_PAD src0_sel:DWORD src1_sel:WORD_1
	v_fma_f16 v44, v53, v17, -v44
	;; [unrolled: 4-line block ×4, first 2 shown]
	s_waitcnt vmcnt(2)
	v_mul_f16_sdwa v62, v60, v20 dst_sel:DWORD dst_unused:UNUSED_PAD src0_sel:DWORD src1_sel:WORD_1
	v_fma_f16 v62, v47, v20, v62
	v_mul_f16_sdwa v47, v47, v20 dst_sel:DWORD dst_unused:UNUSED_PAD src0_sel:DWORD src1_sel:WORD_1
	v_fma_f16 v47, v60, v20, -v47
	v_mul_f16_sdwa v60, v79, v21 dst_sel:DWORD dst_unused:UNUSED_PAD src0_sel:DWORD src1_sel:WORD_1
	v_fma_f16 v60, v74, v21, v60
	v_mul_f16_sdwa v74, v74, v21 dst_sel:DWORD dst_unused:UNUSED_PAD src0_sel:DWORD src1_sel:WORD_1
	v_fma_f16 v74, v79, v21, -v74
	;; [unrolled: 4-line block ×6, first 2 shown]
	v_mul_f16_sdwa v35, v40, v18 dst_sel:DWORD dst_unused:UNUSED_PAD src0_sel:DWORD src1_sel:WORD_1
	v_mul_f16_sdwa v36, v37, v18 dst_sel:DWORD dst_unused:UNUSED_PAD src0_sel:DWORD src1_sel:WORD_1
	v_fma_f16 v35, v37, v18, v35
	v_fma_f16 v18, v40, v18, -v36
	v_mul_f16_sdwa v36, v41, v19 dst_sel:DWORD dst_unused:UNUSED_PAD src0_sel:DWORD src1_sel:WORD_1
	v_mul_f16_sdwa v37, v39, v19 dst_sel:DWORD dst_unused:UNUSED_PAD src0_sel:DWORD src1_sel:WORD_1
	v_fma_f16 v36, v39, v19, v36
	v_fma_f16 v19, v41, v19, -v37
	;; [unrolled: 4-line block ×6, first 2 shown]
	s_waitcnt vmcnt(1)
	v_mul_f16_sdwa v41, v54, v24 dst_sel:DWORD dst_unused:UNUSED_PAD src0_sel:DWORD src1_sel:WORD_1
	v_mul_f16_sdwa v42, v45, v24 dst_sel:DWORD dst_unused:UNUSED_PAD src0_sel:DWORD src1_sel:WORD_1
	v_fma_f16 v41, v45, v24, v41
	v_fma_f16 v24, v54, v24, -v42
	v_mul_f16_sdwa v42, v65, v25 dst_sel:DWORD dst_unused:UNUSED_PAD src0_sel:DWORD src1_sel:WORD_1
	v_mul_f16_sdwa v43, v59, v25 dst_sel:DWORD dst_unused:UNUSED_PAD src0_sel:DWORD src1_sel:WORD_1
	v_fma_f16 v42, v59, v25, v42
	v_fma_f16 v25, v65, v25, -v43
	;; [unrolled: 4-line block ×3, first 2 shown]
	v_mul_f16_sdwa v45, v61, v27 dst_sel:DWORD dst_unused:UNUSED_PAD src0_sel:DWORD src1_sel:WORD_1
	v_fma_f16 v45, v48, v27, v45
	v_mul_f16_sdwa v48, v48, v27 dst_sel:DWORD dst_unused:UNUSED_PAD src0_sel:DWORD src1_sel:WORD_1
	v_fma_f16 v27, v61, v27, -v48
	s_waitcnt vmcnt(0)
	v_mul_f16_sdwa v48, v80, v28 dst_sel:DWORD dst_unused:UNUSED_PAD src0_sel:DWORD src1_sel:WORD_1
	v_mul_f16_sdwa v50, v75, v28 dst_sel:DWORD dst_unused:UNUSED_PAD src0_sel:DWORD src1_sel:WORD_1
	v_fma_f16 v48, v75, v28, v48
	v_fma_f16 v28, v80, v28, -v50
	v_mul_f16_sdwa v50, v72, v29 dst_sel:DWORD dst_unused:UNUSED_PAD src0_sel:DWORD src1_sel:WORD_1
	v_mul_f16_sdwa v51, v73, v29 dst_sel:DWORD dst_unused:UNUSED_PAD src0_sel:DWORD src1_sel:WORD_1
	v_fma_f16 v50, v73, v29, v50
	v_fma_f16 v29, v72, v29, -v51
	v_mul_f16_sdwa v51, v67, v30 dst_sel:DWORD dst_unused:UNUSED_PAD src0_sel:DWORD src1_sel:WORD_1
	v_mul_f16_sdwa v52, v69, v30 dst_sel:DWORD dst_unused:UNUSED_PAD src0_sel:DWORD src1_sel:WORD_1
	v_add_f16_e32 v59, v46, v76
	v_sub_f16_e32 v46, v46, v76
	v_fma_f16 v51, v69, v30, v51
	v_fma_f16 v30, v67, v30, -v52
	v_add_f16_e32 v63, v44, v70
	v_sub_f16_e32 v67, v84, v71
	v_sub_f16_e32 v44, v44, v70
	v_mul_f16_e32 v68, 0x3924, v46
	v_sub_f16_e32 v70, v49, v47
	v_add_f16_e32 v61, v55, v79
	v_add_f16_e32 v65, v53, v60
	v_add_f16_e32 v66, v56, v74
	v_sub_f16_e32 v55, v55, v79
	v_sub_f16_e32 v53, v53, v60
	;; [unrolled: 1-line block ×3, first 2 shown]
	v_mul_f16_e32 v60, 0x3924, v67
	v_fma_f16 v68, v44, s11, v68
	v_sub_f16_e32 v69, v64, v62
	v_mul_f16_e32 v76, 0xb924, v70
	v_fma_f16 v60, v55, s11, v60
	v_fma_f16 v68, v56, s5, v68
	v_mul_f16_e32 v75, 0xb924, v69
	v_fma_f16 v76, v46, s11, v76
	v_mul_f16_sdwa v52, v83, v31 dst_sel:DWORD dst_unused:UNUSED_PAD src0_sel:DWORD src1_sel:WORD_1
	v_mul_f16_sdwa v54, v78, v31 dst_sel:DWORD dst_unused:UNUSED_PAD src0_sel:DWORD src1_sel:WORD_1
	v_fma_f16 v60, v53, s5, v60
	v_fma_f16 v68, v70, s7, v68
	;; [unrolled: 1-line block ×4, first 2 shown]
	v_add_f16_e32 v80, v70, v46
	v_mul_f16_e32 v70, 0x3be1, v70
	v_fma_f16 v52, v78, v31, v52
	v_fma_f16 v31, v83, v31, -v54
	v_add_f16_e32 v54, v84, v71
	v_fma_f16 v60, v69, s7, v60
	v_fma_f16 v75, v53, s4, v75
	;; [unrolled: 1-line block ×3, first 2 shown]
	v_add_f16_e32 v79, v69, v67
	v_sub_f16_e32 v80, v80, v44
	v_mul_f16_e32 v69, 0x3be1, v69
	v_fma_f16 v44, v44, s10, -v70
	v_fma_f16 v75, v55, s7, v75
	v_sub_f16_e32 v79, v79, v55
	v_add_f16_e32 v86, v61, v54
	v_add_f16_e32 v87, v63, v59
	v_fma_f16 v55, v55, s10, -v69
	v_fma_f16 v44, v56, s5, v44
	v_fma_f16 v53, v53, s5, v55
	;; [unrolled: 1-line block ×3, first 2 shown]
	v_add_f16_e32 v46, v65, v86
	v_add_f16_e32 v55, v66, v87
	;; [unrolled: 1-line block ×8, first 2 shown]
	v_fma_f16 v71, v54, s0, v33
	v_fma_f16 v72, v59, s0, v2
	;; [unrolled: 1-line block ×4, first 2 shown]
	v_add_f16_e32 v84, v33, v65
	v_add_f16_e32 v85, v2, v66
	v_add_f16_e32 v46, v33, v46
	v_add_f16_e32 v55, v2, v47
	v_fma_f16 v33, v61, s0, v33
	v_fma_f16 v2, v63, s0, v2
	;; [unrolled: 1-line block ×5, first 2 shown]
	v_fma_f16 v33, v65, -0.5, v33
	v_fma_f16 v2, v66, -0.5, v2
	v_add_f16_e32 v49, v16, v23
	v_sub_f16_e32 v16, v16, v23
	v_fma_f16 v72, v63, s1, v72
	v_fma_f16 v78, v59, s1, v78
	v_fma_f16 v77, v65, -0.5, v77
	v_fma_f16 v33, v54, s6, v33
	v_fma_f16 v2, v59, s6, v2
	v_add_f16_e32 v47, v81, v40
	v_add_f16_e32 v54, v34, v39
	;; [unrolled: 1-line block ×4, first 2 shown]
	v_sub_f16_e32 v40, v81, v40
	v_sub_f16_e32 v23, v34, v39
	;; [unrolled: 1-line block ×4, first 2 shown]
	v_mul_f16_e32 v34, 0x3924, v16
	v_sub_f16_e32 v38, v19, v20
	v_fma_f16 v71, v61, s1, v71
	v_fma_f16 v72, v66, -0.5, v72
	v_fma_f16 v78, v66, -0.5, v78
	v_fma_f16 v77, v61, s6, v77
	v_add_f16_e32 v61, v18, v21
	v_sub_f16_e32 v18, v18, v21
	v_mul_f16_e32 v21, 0x3924, v40
	v_fma_f16 v34, v17, s11, v34
	v_sub_f16_e32 v35, v36, v37
	v_mul_f16_e32 v66, 0xb924, v38
	v_fma_f16 v71, v65, -0.5, v71
	v_fma_f16 v21, v23, s11, v21
	v_fma_f16 v34, v18, s5, v34
	v_mul_f16_e32 v65, 0xb924, v35
	v_fma_f16 v66, v16, s11, v66
	v_fma_f16 v71, v73, s6, v71
	v_add_f16_e32 v88, v73, v86
	v_fma_f16 v21, v22, s5, v21
	v_fma_f16 v34, v38, s7, v34
	;; [unrolled: 1-line block ×4, first 2 shown]
	v_add_f16_e32 v73, v38, v16
	v_mul_f16_e32 v38, 0x3be1, v38
	v_fma_f16 v21, v35, s7, v21
	v_fma_f16 v65, v22, s4, v65
	;; [unrolled: 1-line block ×3, first 2 shown]
	v_add_f16_e32 v70, v35, v40
	v_sub_f16_e32 v73, v73, v17
	v_mul_f16_e32 v35, 0x3be1, v35
	v_fma_f16 v17, v17, s10, -v38
	v_fma_f16 v65, v23, s7, v65
	v_sub_f16_e32 v70, v70, v23
	v_add_f16_e32 v86, v54, v47
	v_fma_f16 v23, v23, s10, -v35
	v_fma_f16 v17, v18, s5, v17
	v_add_f16_e32 v89, v74, v87
	v_add_f16_e32 v87, v56, v49
	v_fma_f16 v22, v22, s5, v23
	v_fma_f16 v16, v16, s7, v17
	v_add_f16_e32 v17, v59, v86
	v_fma_f16 v18, v40, s7, v22
	v_add_f16_e32 v22, v61, v87
	v_add_f16_e32 v17, v36, v17
	v_fma_f16 v78, v63, s6, v78
	v_fma_f16 v84, v88, -0.5, v84
	v_add_f16_e32 v63, v36, v37
	v_add_f16_e32 v64, v19, v20
	;; [unrolled: 1-line block ×4, first 2 shown]
	v_mul_f16_e32 v83, 0x3aee, v80
	v_fma_f16 v80, v80, s4, v84
	v_fma_f16 v53, v67, s7, v53
	;; [unrolled: 1-line block ×4, first 2 shown]
	v_add_f16_e32 v84, v15, v59
	v_add_f16_e32 v19, v20, v19
	;; [unrolled: 1-line block ×3, first 2 shown]
	v_fma_f16 v15, v54, s0, v15
	v_fma_f16 v20, v56, s0, v32
	;; [unrolled: 1-line block ×4, first 2 shown]
	v_fma_f16 v15, v59, -0.5, v15
	v_fma_f16 v20, v61, -0.5, v20
	v_add_f16_e32 v23, v24, v31
	v_sub_f16_e32 v38, v41, v52
	v_fma_f16 v67, v47, s1, v67
	v_fma_f16 v15, v47, s6, v15
	;; [unrolled: 1-line block ×3, first 2 shown]
	v_add_f16_e32 v35, v25, v30
	v_add_f16_e32 v37, v26, v29
	v_sub_f16_e32 v24, v24, v31
	v_sub_f16_e32 v31, v42, v51
	;; [unrolled: 1-line block ×3, first 2 shown]
	v_mul_f16_e32 v29, 0x3924, v38
	v_fma_f16 v47, v23, s0, v57
	v_add_f16_e32 v20, v18, v20
	v_sub_f16_e32 v25, v25, v30
	v_sub_f16_e32 v30, v43, v50
	v_fma_f16 v29, v31, s11, v29
	v_fma_f16 v47, v35, s1, v47
	;; [unrolled: 1-line block ×3, first 2 shown]
	v_fma_f16 v22, v18, -2.0, v20
	v_add_f16_e32 v18, v41, v52
	v_add_f16_e32 v36, v43, v50
	v_fma_f16 v29, v30, s5, v29
	v_sub_f16_e32 v41, v45, v48
	v_fma_f16 v47, v37, -0.5, v47
	v_add_f16_e32 v50, v27, v28
	v_fma_f16 v85, v89, -0.5, v85
	v_fma_f16 v69, v49, s1, v69
	v_fma_f16 v29, v41, s7, v29
	;; [unrolled: 1-line block ×3, first 2 shown]
	v_mul_f16_e32 v82, 0x3aee, v79
	v_fma_f16 v79, v79, s5, v85
	v_fma_f16 v62, v49, s0, v32
	v_fma_f16 v69, v61, -0.5, v69
	v_add_f16_e32 v85, v32, v61
	v_add_f16_e32 v19, v32, v19
	;; [unrolled: 1-line block ×4, first 2 shown]
	v_fma_f16 v62, v56, s1, v62
	v_fma_f16 v69, v56, s6, v69
	v_fma_f16 v52, v29, -2.0, v51
	v_mul_f16_e32 v29, 0xb924, v41
	v_fma_f16 v56, v50, s0, v57
	v_mul_f16_e32 v40, 0x3924, v24
	v_sub_f16_e32 v42, v27, v28
	v_fma_f16 v29, v38, s11, v29
	v_fma_f16 v56, v23, s1, v56
	;; [unrolled: 1-line block ×3, first 2 shown]
	v_mul_f16_e32 v47, 0xb924, v42
	v_fma_f16 v29, v30, s4, v29
	v_fma_f16 v56, v37, -0.5, v56
	v_fma_f16 v40, v26, s5, v40
	v_fma_f16 v47, v24, s11, v47
	;; [unrolled: 1-line block ×5, first 2 shown]
	v_fma_f16 v62, v61, -0.5, v62
	v_fma_f16 v40, v42, s7, v40
	v_fma_f16 v47, v26, s4, v47
	v_add_f16_e32 v56, v29, v56
	v_add_f16_e32 v61, v42, v24
	v_mul_f16_e32 v42, 0x3be1, v42
	v_fma_f16 v39, v59, -0.5, v39
	v_fma_f16 v67, v59, -0.5, v67
	v_fma_f16 v47, v25, s7, v47
	v_fma_f16 v59, v29, -2.0, v56
	v_add_f16_e32 v29, v41, v38
	v_sub_f16_e32 v61, v61, v25
	v_mul_f16_e32 v41, 0x3be1, v41
	v_fma_f16 v25, v25, s10, -v42
	v_add_f16_e32 v88, v63, v86
	v_sub_f16_e32 v29, v29, v31
	v_add_f16_e32 v86, v32, v18
	v_fma_f16 v31, v31, s10, -v41
	v_fma_f16 v25, v26, s5, v25
	v_add_f16_e32 v89, v64, v87
	v_add_f16_e32 v87, v35, v23
	v_fma_f16 v30, v30, s5, v31
	v_fma_f16 v24, v24, s7, v25
	v_add_f16_e32 v25, v36, v86
	v_fma_f16 v26, v38, s7, v30
	v_add_f16_e32 v30, v37, v87
	v_add_f16_e32 v25, v45, v25
	v_fma_f16 v84, v88, -0.5, v84
	v_add_f16_e32 v49, v45, v48
	v_add_f16_e32 v27, v27, v30
	;; [unrolled: 1-line block ×3, first 2 shown]
	v_fma_f16 v67, v54, s6, v67
	v_mul_f16_e32 v81, 0x3aee, v73
	v_fma_f16 v73, v73, s4, v84
	v_fma_f16 v43, v18, s0, v14
	;; [unrolled: 1-line block ×3, first 2 shown]
	v_add_f16_e32 v84, v14, v36
	v_add_f16_e32 v27, v28, v27
	;; [unrolled: 1-line block ×3, first 2 shown]
	v_fma_f16 v14, v32, s0, v14
	v_fma_f16 v43, v32, s1, v43
	;; [unrolled: 1-line block ×3, first 2 shown]
	v_add_f16_e32 v38, v57, v27
	v_fma_f16 v27, v35, s0, v57
	v_fma_f16 v14, v49, s1, v14
	v_fma_f16 v85, v89, -0.5, v85
	v_fma_f16 v43, v36, -0.5, v43
	;; [unrolled: 1-line block ×3, first 2 shown]
	v_add_f16_e32 v88, v49, v86
	v_fma_f16 v27, v50, s1, v27
	v_fma_f16 v14, v36, -0.5, v14
	v_fma_f16 v72, v74, s6, v72
	v_fma_f16 v39, v63, s6, v39
	v_mul_f16_e32 v74, 0x3aee, v70
	v_fma_f16 v70, v70, s5, v85
	v_fma_f16 v43, v49, s6, v43
	;; [unrolled: 1-line block ×3, first 2 shown]
	v_add_f16_e32 v85, v57, v37
	v_add_f16_e32 v89, v50, v87
	v_fma_f16 v84, v88, -0.5, v84
	v_fma_f16 v27, v37, -0.5, v27
	v_fma_f16 v14, v18, s6, v14
	v_sub_f16_e32 v33, v33, v44
	v_fma_f16 v62, v64, s6, v62
	v_sub_f16_e32 v39, v39, v34
	v_sub_f16_e32 v15, v15, v16
	;; [unrolled: 1-line block ×4, first 2 shown]
	v_mul_f16_e32 v64, 0x3aee, v61
	v_fma_f16 v85, v89, -0.5, v85
	v_fma_f16 v61, v61, s4, v84
	v_fma_f16 v18, v23, s6, v27
	v_sub_f16_e32 v14, v14, v24
	v_sub_f16_e32 v71, v71, v68
	;; [unrolled: 1-line block ×3, first 2 shown]
	v_fma_f16 v44, v44, 2.0, v33
	v_fma_f16 v34, v34, 2.0, v39
	v_sub_f16_e32 v67, v67, v66
	v_fma_f16 v16, v16, 2.0, v15
	v_fma_f16 v40, v40, 2.0, v43
	;; [unrolled: 1-line block ×3, first 2 shown]
	v_mul_f16_e32 v63, 0x3aee, v29
	v_fma_f16 v84, v29, s5, v85
	v_fma_f16 v29, v64, 2.0, v61
	v_add_f16_e32 v23, v26, v18
	v_fma_f16 v18, v24, 2.0, v14
	v_lshl_add_u32 v42, v58, 1, 0
	v_fma_f16 v68, v68, 2.0, v71
	v_fma_f16 v76, v76, 2.0, v77
	;; [unrolled: 1-line block ×5, first 2 shown]
	v_fma_f16 v37, v26, -2.0, v23
	ds_write_b16 v9, v46
	ds_write_b16 v9, v71 offset:102
	ds_write_b16 v9, v77 offset:204
	;; [unrolled: 1-line block ×26, first 2 shown]
	s_waitcnt lgkmcnt(0)
	; wave barrier
	s_waitcnt lgkmcnt(0)
	ds_read_u16 v27, v9 offset:1938
	ds_read_u16 v34, v9 offset:2040
	;; [unrolled: 1-line block ×11, first 2 shown]
	ds_read_u16 v24, v9
	ds_read_u16 v29, v9 offset:102
	ds_read_u16 v35, v9 offset:204
	;; [unrolled: 1-line block ×15, first 2 shown]
	v_add_f16_e32 v72, v60, v72
	v_add_f16_e32 v78, v75, v78
	;; [unrolled: 1-line block ×5, first 2 shown]
	v_fma_f16 v60, v60, -2.0, v72
	v_fma_f16 v75, v75, -2.0, v78
	v_fma_f16 v82, v82, -2.0, v79
	v_fma_f16 v53, v53, -2.0, v2
	v_fma_f16 v21, v21, -2.0, v62
	v_fma_f16 v65, v65, -2.0, v69
	v_fma_f16 v74, v74, -2.0, v70
	v_fma_f16 v63, v63, -2.0, v84
	s_waitcnt lgkmcnt(0)
	; wave barrier
	s_waitcnt lgkmcnt(0)
	ds_write_b16 v9, v55
	ds_write_b16 v9, v72 offset:102
	ds_write_b16 v9, v78 offset:204
	;; [unrolled: 1-line block ×26, first 2 shown]
	s_waitcnt lgkmcnt(0)
	; wave barrier
	s_waitcnt lgkmcnt(0)
	s_and_saveexec_b64 s[0:1], vcc
	s_cbranch_execz .LBB0_19
; %bb.18:
	v_lshlrev_b32_e32 v2, 1, v6
	v_lshlrev_b64 v[19:20], 2, v[2:3]
	v_lshlrev_b32_e32 v2, 1, v7
	v_mov_b32_e32 v58, s9
	v_add_co_u32_e32 v19, vcc, s8, v19
	v_lshlrev_b64 v[21:22], 2, v[2:3]
	v_addc_co_u32_e32 v20, vcc, v58, v20, vcc
	global_load_dwordx2 v[19:20], v[19:20], off offset:1768
	v_add_co_u32_e32 v21, vcc, s8, v21
	v_addc_co_u32_e32 v22, vcc, v58, v22, vcc
	global_load_dwordx2 v[21:22], v[21:22], off offset:1768
	v_lshlrev_b32_e32 v2, 1, v8
	v_lshlrev_b64 v[37:38], 2, v[2:3]
	v_lshlrev_b32_e32 v2, 1, v10
	v_add_co_u32_e32 v37, vcc, s8, v37
	v_addc_co_u32_e32 v38, vcc, v58, v38, vcc
	global_load_dwordx2 v[37:38], v[37:38], off offset:1768
	v_lshlrev_b64 v[50:51], 2, v[2:3]
	ds_read_u16 v23, v9 offset:816
	ds_read_u16 v59, v9 offset:2346
	;; [unrolled: 1-line block ×19, first 2 shown]
	v_add_co_u32_e32 v50, vcc, s8, v50
	v_addc_co_u32_e32 v51, vcc, v58, v51, vcc
	global_load_dwordx2 v[50:51], v[50:51], off offset:1768
	v_lshlrev_b32_e32 v2, 1, v11
	v_lshlrev_b64 v[52:53], 2, v[2:3]
	v_add_co_u32_e32 v52, vcc, s8, v52
	v_addc_co_u32_e32 v53, vcc, v58, v53, vcc
	global_load_dwordx2 v[52:53], v[52:53], off offset:1768
	s_waitcnt vmcnt(4)
	v_mul_f16_sdwa v2, v17, v19 dst_sel:DWORD dst_unused:UNUSED_PAD src0_sel:DWORD src1_sel:WORD_1
	v_mul_f16_sdwa v71, v18, v20 dst_sel:DWORD dst_unused:UNUSED_PAD src0_sel:DWORD src1_sel:WORD_1
	s_waitcnt lgkmcnt(11)
	v_mul_f16_sdwa v72, v25, v19 dst_sel:DWORD dst_unused:UNUSED_PAD src0_sel:DWORD src1_sel:WORD_1
	s_waitcnt lgkmcnt(9)
	v_mul_f16_sdwa v73, v54, v20 dst_sel:DWORD dst_unused:UNUSED_PAD src0_sel:DWORD src1_sel:WORD_1
	v_fma_f16 v2, v19, v25, -v2
	v_fma_f16 v25, v20, v54, -v71
	v_fma_f16 v17, v17, v19, v72
	v_fma_f16 v19, v18, v20, v73
	s_waitcnt vmcnt(3)
	v_mul_f16_sdwa v18, v14, v21 dst_sel:DWORD dst_unused:UNUSED_PAD src0_sel:DWORD src1_sel:WORD_1
	v_add_f16_e32 v72, v2, v25
	v_sub_f16_e32 v75, v2, v25
	v_add_f16_e32 v2, v23, v2
	v_mul_f16_sdwa v54, v42, v21 dst_sel:DWORD dst_unused:UNUSED_PAD src0_sel:DWORD src1_sel:WORD_1
	v_fma_f16 v42, v21, v42, -v18
	v_add_f16_e32 v18, v2, v25
	ds_read_u16 v25, v9 offset:714
	v_mul_f16_sdwa v20, v16, v22 dst_sel:DWORD dst_unused:UNUSED_PAD src0_sel:DWORD src1_sel:WORD_1
	s_waitcnt lgkmcnt(9)
	v_mul_f16_sdwa v71, v55, v22 dst_sel:DWORD dst_unused:UNUSED_PAD src0_sel:DWORD src1_sel:WORD_1
	v_fma_f16 v55, v22, v55, -v20
	v_add_f16_e32 v74, v17, v19
	v_fma_f16 v54, v14, v21, v54
	v_fma_f16 v71, v16, v22, v71
	v_add_f16_e32 v2, v42, v55
	v_sub_f16_e32 v73, v17, v19
	v_add_f16_e32 v17, v15, v17
	v_fma_f16 v16, v72, -0.5, v23
	ds_read_u16 v72, v9 offset:612
	v_fma_f16 v20, v74, -0.5, v15
	s_waitcnt lgkmcnt(1)
	v_fma_f16 v2, v2, -0.5, v25
	v_sub_f16_e32 v22, v54, v71
	v_add_f16_e32 v19, v17, v19
	v_fma_f16 v15, v75, s5, v20
	v_fma_f16 v17, v75, s4, v20
	;; [unrolled: 1-line block ×4, first 2 shown]
	v_add_f16_e32 v2, v25, v42
	v_add_f16_e32 v21, v54, v71
	;; [unrolled: 1-line block ×4, first 2 shown]
	v_fma_f16 v23, v21, -0.5, v26
	v_add_f16_e32 v26, v2, v71
	s_waitcnt vmcnt(2)
	v_mul_f16_sdwa v2, v32, v37 dst_sel:DWORD dst_unused:UNUSED_PAD src0_sel:DWORD src1_sel:WORD_1
	v_fma_f16 v14, v73, s4, v16
	v_fma_f16 v16, v73, s5, v16
	v_sub_f16_e32 v73, v42, v55
	v_fma_f16 v42, v37, v57, -v2
	v_mul_f16_sdwa v2, v33, v38 dst_sel:DWORD dst_unused:UNUSED_PAD src0_sel:DWORD src1_sel:WORD_1
	v_fma_f16 v71, v38, v56, -v2
	v_add_f16_e32 v2, v42, v71
	v_fma_f16 v21, v73, s5, v23
	v_fma_f16 v23, v73, s4, v23
	ds_read_u16 v73, v9 offset:510
	s_waitcnt lgkmcnt(1)
	v_fma_f16 v74, v2, -0.5, v72
	v_mul_f16_sdwa v2, v57, v37 dst_sel:DWORD dst_unused:UNUSED_PAD src0_sel:DWORD src1_sel:WORD_1
	v_fma_f16 v57, v32, v37, v2
	v_mul_f16_sdwa v2, v56, v38 dst_sel:DWORD dst_unused:UNUSED_PAD src0_sel:DWORD src1_sel:WORD_1
	v_fma_f16 v56, v33, v38, v2
	v_lshlrev_b32_e32 v2, 1, v12
	v_lshlrev_b64 v[32:33], 2, v[2:3]
	v_sub_f16_e32 v2, v57, v56
	v_add_co_u32_e32 v32, vcc, s8, v32
	v_addc_co_u32_e32 v33, vcc, v58, v33, vcc
	global_load_dwordx2 v[54:55], v[32:33], off offset:1768
	v_fma_f16 v32, v2, s4, v74
	v_fma_f16 v37, v2, s5, v74
	ds_read_u16 v74, v9 offset:408
	v_add_f16_e32 v2, v72, v42
	v_add_f16_e32 v33, v57, v56
	v_sub_f16_e32 v75, v42, v71
	v_add_f16_e32 v42, v2, v71
	v_add_f16_e32 v2, v49, v57
	v_fma_f16 v38, v33, -0.5, v49
	v_add_f16_e32 v49, v2, v56
	s_waitcnt vmcnt(2)
	v_mul_f16_sdwa v2, v48, v50 dst_sel:DWORD dst_unused:UNUSED_PAD src0_sel:DWORD src1_sel:WORD_1
	v_fma_f16 v71, v50, v65, -v2
	v_mul_f16_sdwa v2, v47, v51 dst_sel:DWORD dst_unused:UNUSED_PAD src0_sel:DWORD src1_sel:WORD_1
	v_mul_f16_sdwa v65, v65, v50 dst_sel:DWORD dst_unused:UNUSED_PAD src0_sel:DWORD src1_sel:WORD_1
	v_fma_f16 v72, v51, v59, -v2
	v_lshlrev_b32_e32 v2, 1, v13
	v_fma_f16 v50, v48, v50, v65
	v_mul_f16_sdwa v48, v59, v51 dst_sel:DWORD dst_unused:UNUSED_PAD src0_sel:DWORD src1_sel:WORD_1
	v_lshlrev_b64 v[56:57], 2, v[2:3]
	v_add_f16_e32 v2, v71, v72
	v_fma_f16 v51, v47, v51, v48
	s_waitcnt lgkmcnt(1)
	v_fma_f16 v2, v2, -0.5, v73
	v_sub_f16_e32 v47, v50, v51
	v_add_f16_e32 v48, v50, v51
	v_fma_f16 v59, v47, s4, v2
	v_fma_f16 v48, v48, -0.5, v46
	v_sub_f16_e32 v65, v71, v72
	v_fma_f16 v76, v47, s5, v2
	v_lshlrev_b32_e32 v2, 1, v5
	v_fma_f16 v33, v75, s5, v38
	v_fma_f16 v38, v75, s4, v38
	v_add_co_u32_e32 v56, vcc, s8, v56
	v_fma_f16 v75, v65, s5, v48
	v_fma_f16 v65, v65, s4, v48
	v_lshlrev_b64 v[47:48], 2, v[2:3]
	v_addc_co_u32_e32 v57, vcc, v58, v57, vcc
	v_add_co_u32_e32 v47, vcc, s8, v47
	v_addc_co_u32_e32 v48, vcc, v58, v48, vcc
	v_add_f16_e32 v2, v46, v50
	global_load_dwordx2 v[56:57], v[56:57], off offset:1768
	v_add_f16_e32 v46, v2, v51
	global_load_dwordx2 v[47:48], v[47:48], off offset:1768
	s_waitcnt vmcnt(3)
	v_mul_f16_sdwa v2, v45, v52 dst_sel:DWORD dst_unused:UNUSED_PAD src0_sel:DWORD src1_sel:WORD_1
	v_fma_f16 v50, v52, v66, -v2
	v_mul_f16_sdwa v2, v44, v53 dst_sel:DWORD dst_unused:UNUSED_PAD src0_sel:DWORD src1_sel:WORD_1
	v_fma_f16 v51, v53, v60, -v2
	v_add_f16_e32 v71, v73, v71
	v_add_f16_e32 v2, v50, v51
	;; [unrolled: 1-line block ×3, first 2 shown]
	ds_read_u16 v72, v9 offset:306
	s_waitcnt lgkmcnt(1)
	v_fma_f16 v73, v2, -0.5, v74
	v_mul_f16_sdwa v2, v66, v52 dst_sel:DWORD dst_unused:UNUSED_PAD src0_sel:DWORD src1_sel:WORD_1
	v_fma_f16 v45, v45, v52, v2
	v_mul_f16_sdwa v2, v60, v53 dst_sel:DWORD dst_unused:UNUSED_PAD src0_sel:DWORD src1_sel:WORD_1
	v_fma_f16 v44, v44, v53, v2
	v_lshlrev_b32_e32 v2, 1, v4
	v_lshlrev_b64 v[2:3], 2, v[2:3]
	v_sub_f16_e32 v52, v45, v44
	v_add_co_u32_e32 v2, vcc, s8, v2
	v_addc_co_u32_e32 v3, vcc, v58, v3, vcc
	global_load_dwordx2 v[2:3], v[2:3], off offset:1768
	v_add_f16_e32 v58, v45, v44
	v_fma_f16 v58, v58, -0.5, v43
	v_add_f16_e32 v43, v43, v45
	v_add_f16_e32 v43, v43, v44
	v_sub_f16_e32 v60, v50, v51
	v_add_f16_e32 v50, v74, v50
	v_add_f16_e32 v50, v50, v51
	v_fma_f16 v66, v60, s5, v58
	v_fma_f16 v58, v60, s4, v58
	ds_read_u16 v60, v9 offset:204
	v_fma_f16 v53, v52, s4, v73
	v_fma_f16 v52, v52, s5, v73
	s_waitcnt vmcnt(3)
	v_mul_f16_sdwa v44, v41, v54 dst_sel:DWORD dst_unused:UNUSED_PAD src0_sel:DWORD src1_sel:WORD_1
	v_fma_f16 v44, v54, v67, -v44
	v_mul_f16_sdwa v67, v67, v54 dst_sel:DWORD dst_unused:UNUSED_PAD src0_sel:DWORD src1_sel:WORD_1
	v_mul_f16_sdwa v45, v39, v55 dst_sel:DWORD dst_unused:UNUSED_PAD src0_sel:DWORD src1_sel:WORD_1
	v_fma_f16 v41, v41, v54, v67
	v_mul_f16_sdwa v54, v61, v55 dst_sel:DWORD dst_unused:UNUSED_PAD src0_sel:DWORD src1_sel:WORD_1
	v_fma_f16 v45, v55, v61, -v45
	v_fma_f16 v39, v39, v55, v54
	v_add_f16_e32 v51, v44, v45
	v_add_f16_e32 v61, v41, v39
	s_waitcnt lgkmcnt(1)
	v_fma_f16 v51, v51, -0.5, v72
	v_sub_f16_e32 v54, v41, v39
	v_fma_f16 v61, v61, -0.5, v40
	v_sub_f16_e32 v67, v44, v45
	v_add_f16_e32 v40, v40, v41
	v_fma_f16 v55, v54, s4, v51
	v_fma_f16 v73, v67, s5, v61
	v_fma_f16 v51, v54, s5, v51
	v_fma_f16 v54, v67, s4, v61
	ds_read_u16 v61, v9 offset:102
	v_add_f16_e32 v39, v40, v39
	v_add_f16_e32 v44, v72, v44
	;; [unrolled: 1-line block ×3, first 2 shown]
	ds_read_u16 v9, v9
	s_waitcnt vmcnt(2)
	v_mul_f16_sdwa v40, v36, v56 dst_sel:DWORD dst_unused:UNUSED_PAD src0_sel:DWORD src1_sel:WORD_1
	v_mul_f16_sdwa v67, v68, v56 dst_sel:DWORD dst_unused:UNUSED_PAD src0_sel:DWORD src1_sel:WORD_1
	v_fma_f16 v40, v56, v68, -v40
	v_fma_f16 v36, v36, v56, v67
	v_mul_f16_sdwa v56, v62, v57 dst_sel:DWORD dst_unused:UNUSED_PAD src0_sel:DWORD src1_sel:WORD_1
	v_mul_f16_sdwa v41, v34, v57 dst_sel:DWORD dst_unused:UNUSED_PAD src0_sel:DWORD src1_sel:WORD_1
	v_fma_f16 v34, v34, v57, v56
	v_fma_f16 v41, v57, v62, -v41
	v_add_f16_e32 v62, v36, v34
	v_add_f16_e32 v45, v40, v41
	v_fma_f16 v62, v62, -0.5, v35
	v_add_f16_e32 v35, v35, v36
	s_waitcnt lgkmcnt(2)
	v_fma_f16 v45, v45, -0.5, v60
	v_sub_f16_e32 v56, v36, v34
	v_sub_f16_e32 v67, v40, v41
	v_add_f16_e32 v40, v60, v40
	v_add_f16_e32 v34, v35, v34
	s_waitcnt vmcnt(1)
	v_mul_f16_sdwa v35, v31, v47 dst_sel:DWORD dst_unused:UNUSED_PAD src0_sel:DWORD src1_sel:WORD_1
	v_mul_f16_sdwa v60, v69, v47 dst_sel:DWORD dst_unused:UNUSED_PAD src0_sel:DWORD src1_sel:WORD_1
	v_fma_f16 v35, v47, v69, -v35
	v_mul_f16_sdwa v36, v27, v48 dst_sel:DWORD dst_unused:UNUSED_PAD src0_sel:DWORD src1_sel:WORD_1
	v_fma_f16 v31, v31, v47, v60
	v_mul_f16_sdwa v47, v63, v48 dst_sel:DWORD dst_unused:UNUSED_PAD src0_sel:DWORD src1_sel:WORD_1
	v_fma_f16 v36, v48, v63, -v36
	v_fma_f16 v27, v27, v48, v47
	v_add_f16_e32 v40, v40, v41
	v_add_f16_e32 v41, v35, v36
	;; [unrolled: 1-line block ×3, first 2 shown]
	v_fma_f16 v57, v56, s4, v45
	v_fma_f16 v68, v67, s5, v62
	;; [unrolled: 1-line block ×4, first 2 shown]
	s_waitcnt lgkmcnt(1)
	v_fma_f16 v41, v41, -0.5, v61
	v_sub_f16_e32 v47, v31, v27
	v_fma_f16 v60, v60, -0.5, v29
	v_sub_f16_e32 v62, v35, v36
	v_add_f16_e32 v29, v29, v31
	v_fma_f16 v48, v47, s4, v41
	v_fma_f16 v63, v62, s5, v60
	;; [unrolled: 1-line block ×4, first 2 shown]
	v_add_f16_e32 v31, v29, v27
	s_waitcnt vmcnt(0)
	v_mul_f16_sdwa v27, v28, v2 dst_sel:DWORD dst_unused:UNUSED_PAD src0_sel:DWORD src1_sel:WORD_1
	v_mul_f16_sdwa v60, v70, v2 dst_sel:DWORD dst_unused:UNUSED_PAD src0_sel:DWORD src1_sel:WORD_1
	v_fma_f16 v27, v2, v70, -v27
	v_fma_f16 v60, v28, v2, v60
	v_mul_f16_sdwa v2, v64, v3 dst_sel:DWORD dst_unused:UNUSED_PAD src0_sel:DWORD src1_sel:WORD_1
	v_mul_f16_sdwa v29, v30, v3 dst_sel:DWORD dst_unused:UNUSED_PAD src0_sel:DWORD src1_sel:WORD_1
	v_fma_f16 v30, v30, v3, v2
	v_add_f16_e32 v2, v60, v30
	v_fma_f16 v29, v3, v64, -v29
	v_fma_f16 v62, v2, -0.5, v24
	v_mad_u64_u32 v[2:3], s[0:1], s2, v4, 0
	v_add_f16_e32 v35, v61, v35
	v_add_f16_e32 v35, v35, v36
	;; [unrolled: 1-line block ×3, first 2 shown]
	s_waitcnt lgkmcnt(0)
	v_fma_f16 v36, v36, -0.5, v9
	v_sub_f16_e32 v28, v60, v30
	v_fma_f16 v61, v28, s4, v36
	v_sub_f16_e32 v64, v27, v29
	v_fma_f16 v36, v28, s5, v36
	v_add_f16_e32 v9, v9, v27
	v_mad_u64_u32 v[27:28], s[0:1], s3, v4, v[3:4]
	v_add_f16_e32 v3, v24, v60
	v_add_f16_e32 v24, v3, v30
	v_add_u32_e32 v30, 0x1cb, v4
	v_mov_b32_e32 v3, v27
	v_mad_u64_u32 v[27:28], s[0:1], s2, v30, 0
	v_add_f16_e32 v9, v9, v29
	v_mov_b32_e32 v29, s13
	v_add_co_u32_e32 v60, vcc, s12, v0
	v_fma_f16 v67, v64, s5, v62
	v_fma_f16 v62, v64, s4, v62
	v_addc_co_u32_e32 v64, vcc, v29, v1, vcc
	v_lshlrev_b64 v[0:1], 2, v[2:3]
	v_mov_b32_e32 v2, v28
	v_mad_u64_u32 v[2:3], s[0:1], s3, v30, v[2:3]
	v_add_co_u32_e32 v0, vcc, v60, v0
	v_addc_co_u32_e32 v1, vcc, v64, v1, vcc
	v_pack_b32_f16 v3, v24, v9
	v_add_u32_e32 v9, 0x396, v4
	global_store_dword v[0:1], v3, off
	v_mov_b32_e32 v28, v2
	v_mad_u64_u32 v[2:3], s[0:1], s2, v9, 0
	v_lshlrev_b64 v[0:1], 2, v[27:28]
	v_mad_u64_u32 v[27:28], s[0:1], s3, v9, v[3:4]
	v_add_co_u32_e32 v0, vcc, v60, v0
	v_addc_co_u32_e32 v1, vcc, v64, v1, vcc
	v_pack_b32_f16 v3, v62, v36
	global_store_dword v[0:1], v3, off
	v_mov_b32_e32 v3, v27
	v_lshlrev_b64 v[0:1], 2, v[2:3]
	v_mad_u64_u32 v[2:3], s[4:5], s2, v5, 0
	v_add_co_u32_e32 v0, vcc, v60, v0
	v_mad_u64_u32 v[27:28], s[4:5], s3, v5, v[3:4]
	v_add_u32_e32 v5, 0x1fe, v4
	v_mad_u64_u32 v[28:29], s[4:5], s2, v5, 0
	v_addc_co_u32_e32 v1, vcc, v64, v1, vcc
	v_pack_b32_f16 v9, v67, v61
	v_mov_b32_e32 v3, v27
	global_store_dword v[0:1], v9, off
	v_lshlrev_b64 v[0:1], 2, v[2:3]
	v_mov_b32_e32 v2, v29
	v_mad_u64_u32 v[2:3], s[4:5], s3, v5, v[2:3]
	v_add_co_u32_e32 v0, vcc, v60, v0
	v_addc_co_u32_e32 v1, vcc, v64, v1, vcc
	v_pack_b32_f16 v3, v31, v35
	v_add_u32_e32 v5, 0x3c9, v4
	global_store_dword v[0:1], v3, off
	v_mov_b32_e32 v29, v2
	v_mad_u64_u32 v[2:3], s[4:5], s2, v5, 0
	v_lshlrev_b64 v[0:1], 2, v[28:29]
	v_pack_b32_f16 v9, v47, v41
	v_mad_u64_u32 v[27:28], s[4:5], s3, v5, v[3:4]
	v_mad_u64_u32 v[28:29], s[4:5], s2, v13, 0
	v_add_co_u32_e32 v0, vcc, v60, v0
	v_addc_co_u32_e32 v1, vcc, v64, v1, vcc
	v_mov_b32_e32 v3, v27
	global_store_dword v[0:1], v9, off
	v_lshlrev_b64 v[0:1], 2, v[2:3]
	v_mov_b32_e32 v2, v29
	v_mad_u64_u32 v[2:3], s[4:5], s3, v13, v[2:3]
	v_add_co_u32_e32 v0, vcc, v60, v0
	v_addc_co_u32_e32 v1, vcc, v64, v1, vcc
	v_pack_b32_f16 v3, v63, v48
	v_add_u32_e32 v5, 0x231, v4
	global_store_dword v[0:1], v3, off
	v_mov_b32_e32 v29, v2
	v_mad_u64_u32 v[2:3], s[4:5], s2, v5, 0
	v_lshlrev_b64 v[0:1], 2, v[28:29]
	v_pack_b32_f16 v9, v34, v40
	v_mad_u64_u32 v[27:28], s[4:5], s3, v5, v[3:4]
	v_add_u32_e32 v5, 0x3fc, v4
	v_mad_u64_u32 v[28:29], s[4:5], s2, v5, 0
	v_add_co_u32_e32 v0, vcc, v60, v0
	v_addc_co_u32_e32 v1, vcc, v64, v1, vcc
	v_mov_b32_e32 v3, v27
	global_store_dword v[0:1], v9, off
	v_lshlrev_b64 v[0:1], 2, v[2:3]
	v_mov_b32_e32 v2, v29
	v_mad_u64_u32 v[2:3], s[4:5], s3, v5, v[2:3]
	v_add_co_u32_e32 v0, vcc, v60, v0
	v_addc_co_u32_e32 v1, vcc, v64, v1, vcc
	v_pack_b32_f16 v3, v56, v45
	global_store_dword v[0:1], v3, off
	v_mov_b32_e32 v29, v2
	v_mad_u64_u32 v[2:3], s[4:5], s2, v12, 0
	v_add_u32_e32 v9, 0x264, v4
	v_lshlrev_b64 v[0:1], 2, v[28:29]
	v_mad_u64_u32 v[12:13], s[4:5], s3, v12, v[3:4]
	v_mad_u64_u32 v[27:28], s[4:5], s2, v9, 0
	v_add_co_u32_e32 v0, vcc, v60, v0
	v_addc_co_u32_e32 v1, vcc, v64, v1, vcc
	v_pack_b32_f16 v5, v68, v57
	v_mov_b32_e32 v3, v12
	global_store_dword v[0:1], v5, off
	v_lshlrev_b64 v[0:1], 2, v[2:3]
	v_mov_b32_e32 v2, v28
	v_mad_u64_u32 v[2:3], s[4:5], s3, v9, v[2:3]
	v_add_co_u32_e32 v0, vcc, v60, v0
	v_addc_co_u32_e32 v1, vcc, v64, v1, vcc
	v_pack_b32_f16 v3, v39, v44
	v_add_u32_e32 v5, 0x42f, v4
	global_store_dword v[0:1], v3, off
	v_mov_b32_e32 v28, v2
	v_mad_u64_u32 v[2:3], s[4:5], s2, v5, 0
	s_mov_b32 s1, 0x4763d59d
	v_lshlrev_b64 v[0:1], 2, v[27:28]
	v_mad_u64_u32 v[12:13], s[4:5], s3, v5, v[3:4]
	v_mul_hi_u32 v5, v11, s1
	v_add_co_u32_e32 v0, vcc, v60, v0
	v_addc_co_u32_e32 v1, vcc, v64, v1, vcc
	v_pack_b32_f16 v9, v54, v51
	v_mov_b32_e32 v3, v12
	s_movk_i32 s0, 0x396
	global_store_dword v[0:1], v9, off
	v_lshlrev_b64 v[0:1], 2, v[2:3]
	v_lshrrev_b32_e32 v2, 7, v5
	v_mad_u32_u24 v5, v2, s0, v11
	v_mad_u64_u32 v[2:3], s[4:5], s2, v5, 0
	v_add_u32_e32 v24, 0x1cb, v5
	v_add_co_u32_e32 v0, vcc, v60, v0
	v_mad_u64_u32 v[11:12], s[4:5], s3, v5, v[3:4]
	v_mad_u64_u32 v[12:13], s[4:5], s2, v24, 0
	v_addc_co_u32_e32 v1, vcc, v64, v1, vcc
	v_pack_b32_f16 v9, v73, v55
	v_mov_b32_e32 v3, v11
	global_store_dword v[0:1], v9, off
	v_lshlrev_b64 v[0:1], 2, v[2:3]
	v_mov_b32_e32 v2, v13
	v_mad_u64_u32 v[2:3], s[4:5], s3, v24, v[2:3]
	v_add_co_u32_e32 v0, vcc, v60, v0
	v_addc_co_u32_e32 v1, vcc, v64, v1, vcc
	v_pack_b32_f16 v3, v43, v50
	v_add_u32_e32 v5, 0x396, v5
	global_store_dword v[0:1], v3, off
	v_mov_b32_e32 v13, v2
	v_mad_u64_u32 v[2:3], s[4:5], s2, v5, 0
	v_mul_hi_u32 v9, v10, s1
	v_lshlrev_b64 v[0:1], 2, v[12:13]
	v_mad_u64_u32 v[11:12], s[4:5], s3, v5, v[3:4]
	v_lshrrev_b32_e32 v3, 7, v9
	v_mad_u32_u24 v5, v3, s0, v10
	v_mad_u64_u32 v[9:10], s[4:5], s2, v5, 0
	v_add_co_u32_e32 v0, vcc, v60, v0
	v_addc_co_u32_e32 v1, vcc, v64, v1, vcc
	v_pack_b32_f16 v13, v58, v52
	v_mov_b32_e32 v3, v11
	global_store_dword v[0:1], v13, off
	v_lshlrev_b64 v[0:1], 2, v[2:3]
	v_mov_b32_e32 v2, v10
	v_mad_u64_u32 v[2:3], s[4:5], s3, v5, v[2:3]
	v_add_co_u32_e32 v0, vcc, v60, v0
	v_addc_co_u32_e32 v1, vcc, v64, v1, vcc
	v_pack_b32_f16 v3, v66, v53
	v_mov_b32_e32 v10, v2
	global_store_dword v[0:1], v3, off
	v_lshlrev_b64 v[0:1], 2, v[9:10]
	v_add_u32_e32 v9, 0x1cb, v5
	v_mad_u64_u32 v[2:3], s[4:5], s2, v9, 0
	v_add_u32_e32 v5, 0x396, v5
	v_add_co_u32_e32 v0, vcc, v60, v0
	v_mad_u64_u32 v[9:10], s[4:5], s3, v9, v[3:4]
	v_mad_u64_u32 v[10:11], s[4:5], s2, v5, 0
	v_addc_co_u32_e32 v1, vcc, v64, v1, vcc
	v_pack_b32_f16 v12, v46, v71
	v_mov_b32_e32 v3, v9
	global_store_dword v[0:1], v12, off
	v_lshlrev_b64 v[0:1], 2, v[2:3]
	v_mov_b32_e32 v2, v11
	v_mad_u64_u32 v[2:3], s[4:5], s3, v5, v[2:3]
	v_add_co_u32_e32 v0, vcc, v60, v0
	v_addc_co_u32_e32 v1, vcc, v64, v1, vcc
	v_pack_b32_f16 v3, v65, v76
	global_store_dword v[0:1], v3, off
	v_mov_b32_e32 v11, v2
	v_mad_u64_u32 v[2:3], s[4:5], s2, v8, 0
	v_lshlrev_b64 v[0:1], 2, v[10:11]
	v_add_u32_e32 v11, 0x2fd, v4
	v_mad_u64_u32 v[8:9], s[4:5], s3, v8, v[3:4]
	v_mad_u64_u32 v[9:10], s[4:5], s2, v11, 0
	v_add_co_u32_e32 v0, vcc, v60, v0
	v_addc_co_u32_e32 v1, vcc, v64, v1, vcc
	v_pack_b32_f16 v5, v75, v59
	v_mov_b32_e32 v3, v8
	global_store_dword v[0:1], v5, off
	v_lshlrev_b64 v[0:1], 2, v[2:3]
	v_mov_b32_e32 v2, v10
	v_mad_u64_u32 v[2:3], s[4:5], s3, v11, v[2:3]
	v_add_co_u32_e32 v0, vcc, v60, v0
	v_addc_co_u32_e32 v1, vcc, v64, v1, vcc
	v_pack_b32_f16 v3, v49, v42
	v_add_u32_e32 v4, 0x4c8, v4
	global_store_dword v[0:1], v3, off
	v_mov_b32_e32 v10, v2
	v_mad_u64_u32 v[2:3], s[4:5], s2, v4, 0
	v_lshlrev_b64 v[0:1], 2, v[9:10]
	v_mul_hi_u32 v5, v7, s1
	v_mad_u64_u32 v[3:4], s[4:5], s3, v4, v[3:4]
	v_add_co_u32_e32 v0, vcc, v60, v0
	v_addc_co_u32_e32 v1, vcc, v64, v1, vcc
	v_pack_b32_f16 v4, v38, v37
	global_store_dword v[0:1], v4, off
	v_lshlrev_b64 v[0:1], 2, v[2:3]
	v_lshrrev_b32_e32 v2, 7, v5
	v_mad_u32_u24 v7, v2, s0, v7
	v_mad_u64_u32 v[2:3], s[4:5], s2, v7, 0
	v_add_u32_e32 v9, 0x1cb, v7
	v_add_co_u32_e32 v0, vcc, v60, v0
	v_mad_u64_u32 v[3:4], s[4:5], s3, v7, v[3:4]
	v_mad_u64_u32 v[4:5], s[4:5], s2, v9, 0
	v_addc_co_u32_e32 v1, vcc, v64, v1, vcc
	v_pack_b32_f16 v8, v33, v32
	global_store_dword v[0:1], v8, off
	v_lshlrev_b64 v[0:1], 2, v[2:3]
	v_mov_b32_e32 v2, v5
	v_mad_u64_u32 v[2:3], s[4:5], s3, v9, v[2:3]
	v_add_co_u32_e32 v0, vcc, v60, v0
	v_addc_co_u32_e32 v1, vcc, v64, v1, vcc
	v_pack_b32_f16 v3, v26, v25
	v_mov_b32_e32 v5, v2
	global_store_dword v[0:1], v3, off
	v_lshlrev_b64 v[0:1], 2, v[4:5]
	v_add_u32_e32 v4, 0x396, v7
	v_mad_u64_u32 v[2:3], s[4:5], s2, v4, 0
	v_mul_hi_u32 v5, v6, s1
	v_add_co_u32_e32 v0, vcc, v60, v0
	v_mad_u64_u32 v[3:4], s[4:5], s3, v4, v[3:4]
	v_lshrrev_b32_e32 v4, 7, v5
	v_mad_u32_u24 v6, v4, s0, v6
	v_mad_u64_u32 v[4:5], s[0:1], s2, v6, 0
	v_addc_co_u32_e32 v1, vcc, v64, v1, vcc
	v_pack_b32_f16 v7, v23, v22
	global_store_dword v[0:1], v7, off
	v_lshlrev_b64 v[0:1], 2, v[2:3]
	v_mov_b32_e32 v2, v5
	v_mad_u64_u32 v[2:3], s[0:1], s3, v6, v[2:3]
	v_add_co_u32_e32 v0, vcc, v60, v0
	v_addc_co_u32_e32 v1, vcc, v64, v1, vcc
	v_pack_b32_f16 v3, v21, v20
	v_mov_b32_e32 v5, v2
	global_store_dword v[0:1], v3, off
	v_lshlrev_b64 v[0:1], 2, v[4:5]
	v_add_u32_e32 v4, 0x1cb, v6
	v_mad_u64_u32 v[2:3], s[0:1], s2, v4, 0
	v_add_u32_e32 v6, 0x396, v6
	v_add_co_u32_e32 v0, vcc, v60, v0
	v_mad_u64_u32 v[3:4], s[0:1], s3, v4, v[3:4]
	v_mad_u64_u32 v[4:5], s[0:1], s2, v6, 0
	v_addc_co_u32_e32 v1, vcc, v64, v1, vcc
	v_pack_b32_f16 v7, v19, v18
	global_store_dword v[0:1], v7, off
	v_lshlrev_b64 v[0:1], 2, v[2:3]
	v_mov_b32_e32 v2, v5
	v_mad_u64_u32 v[2:3], s[0:1], s3, v6, v[2:3]
	v_add_co_u32_e32 v0, vcc, v60, v0
	v_addc_co_u32_e32 v1, vcc, v64, v1, vcc
	v_pack_b32_f16 v3, v17, v16
	v_mov_b32_e32 v5, v2
	global_store_dword v[0:1], v3, off
	v_lshlrev_b64 v[0:1], 2, v[4:5]
	v_pack_b32_f16 v2, v15, v14
	v_add_co_u32_e32 v0, vcc, v60, v0
	v_addc_co_u32_e32 v1, vcc, v64, v1, vcc
	global_store_dword v[0:1], v2, off
.LBB0_19:
	s_endpgm
	.section	.rodata,"a",@progbits
	.p2align	6, 0x0
	.amdhsa_kernel fft_rtc_back_len1377_factors_17_3_9_3_wgs_51_tpt_51_halfLds_half_ip_CI_sbrr_dirReg
		.amdhsa_group_segment_fixed_size 0
		.amdhsa_private_segment_fixed_size 0
		.amdhsa_kernarg_size 88
		.amdhsa_user_sgpr_count 6
		.amdhsa_user_sgpr_private_segment_buffer 1
		.amdhsa_user_sgpr_dispatch_ptr 0
		.amdhsa_user_sgpr_queue_ptr 0
		.amdhsa_user_sgpr_kernarg_segment_ptr 1
		.amdhsa_user_sgpr_dispatch_id 0
		.amdhsa_user_sgpr_flat_scratch_init 0
		.amdhsa_user_sgpr_private_segment_size 0
		.amdhsa_uses_dynamic_stack 0
		.amdhsa_system_sgpr_private_segment_wavefront_offset 0
		.amdhsa_system_sgpr_workgroup_id_x 1
		.amdhsa_system_sgpr_workgroup_id_y 0
		.amdhsa_system_sgpr_workgroup_id_z 0
		.amdhsa_system_sgpr_workgroup_info 0
		.amdhsa_system_vgpr_workitem_id 0
		.amdhsa_next_free_vgpr 116
		.amdhsa_next_free_sgpr 75
		.amdhsa_reserve_vcc 1
		.amdhsa_reserve_flat_scratch 0
		.amdhsa_float_round_mode_32 0
		.amdhsa_float_round_mode_16_64 0
		.amdhsa_float_denorm_mode_32 3
		.amdhsa_float_denorm_mode_16_64 3
		.amdhsa_dx10_clamp 1
		.amdhsa_ieee_mode 1
		.amdhsa_fp16_overflow 0
		.amdhsa_exception_fp_ieee_invalid_op 0
		.amdhsa_exception_fp_denorm_src 0
		.amdhsa_exception_fp_ieee_div_zero 0
		.amdhsa_exception_fp_ieee_overflow 0
		.amdhsa_exception_fp_ieee_underflow 0
		.amdhsa_exception_fp_ieee_inexact 0
		.amdhsa_exception_int_div_zero 0
	.end_amdhsa_kernel
	.text
.Lfunc_end0:
	.size	fft_rtc_back_len1377_factors_17_3_9_3_wgs_51_tpt_51_halfLds_half_ip_CI_sbrr_dirReg, .Lfunc_end0-fft_rtc_back_len1377_factors_17_3_9_3_wgs_51_tpt_51_halfLds_half_ip_CI_sbrr_dirReg
                                        ; -- End function
	.section	.AMDGPU.csdata,"",@progbits
; Kernel info:
; codeLenInByte = 20848
; NumSgprs: 79
; NumVgprs: 116
; ScratchSize: 0
; MemoryBound: 0
; FloatMode: 240
; IeeeMode: 1
; LDSByteSize: 0 bytes/workgroup (compile time only)
; SGPRBlocks: 9
; VGPRBlocks: 28
; NumSGPRsForWavesPerEU: 79
; NumVGPRsForWavesPerEU: 116
; Occupancy: 2
; WaveLimiterHint : 1
; COMPUTE_PGM_RSRC2:SCRATCH_EN: 0
; COMPUTE_PGM_RSRC2:USER_SGPR: 6
; COMPUTE_PGM_RSRC2:TRAP_HANDLER: 0
; COMPUTE_PGM_RSRC2:TGID_X_EN: 1
; COMPUTE_PGM_RSRC2:TGID_Y_EN: 0
; COMPUTE_PGM_RSRC2:TGID_Z_EN: 0
; COMPUTE_PGM_RSRC2:TIDIG_COMP_CNT: 0
	.type	__hip_cuid_221169fc792a63a7,@object ; @__hip_cuid_221169fc792a63a7
	.section	.bss,"aw",@nobits
	.globl	__hip_cuid_221169fc792a63a7
__hip_cuid_221169fc792a63a7:
	.byte	0                               ; 0x0
	.size	__hip_cuid_221169fc792a63a7, 1

	.ident	"AMD clang version 19.0.0git (https://github.com/RadeonOpenCompute/llvm-project roc-6.4.0 25133 c7fe45cf4b819c5991fe208aaa96edf142730f1d)"
	.section	".note.GNU-stack","",@progbits
	.addrsig
	.addrsig_sym __hip_cuid_221169fc792a63a7
	.amdgpu_metadata
---
amdhsa.kernels:
  - .args:
      - .actual_access:  read_only
        .address_space:  global
        .offset:         0
        .size:           8
        .value_kind:     global_buffer
      - .offset:         8
        .size:           8
        .value_kind:     by_value
      - .actual_access:  read_only
        .address_space:  global
        .offset:         16
        .size:           8
        .value_kind:     global_buffer
      - .actual_access:  read_only
        .address_space:  global
        .offset:         24
        .size:           8
        .value_kind:     global_buffer
      - .offset:         32
        .size:           8
        .value_kind:     by_value
      - .actual_access:  read_only
        .address_space:  global
        .offset:         40
        .size:           8
        .value_kind:     global_buffer
      - .actual_access:  read_only
        .address_space:  global
        .offset:         48
        .size:           8
        .value_kind:     global_buffer
      - .offset:         56
        .size:           4
        .value_kind:     by_value
      - .actual_access:  read_only
        .address_space:  global
        .offset:         64
        .size:           8
        .value_kind:     global_buffer
      - .actual_access:  read_only
        .address_space:  global
        .offset:         72
        .size:           8
        .value_kind:     global_buffer
      - .address_space:  global
        .offset:         80
        .size:           8
        .value_kind:     global_buffer
    .group_segment_fixed_size: 0
    .kernarg_segment_align: 8
    .kernarg_segment_size: 88
    .language:       OpenCL C
    .language_version:
      - 2
      - 0
    .max_flat_workgroup_size: 51
    .name:           fft_rtc_back_len1377_factors_17_3_9_3_wgs_51_tpt_51_halfLds_half_ip_CI_sbrr_dirReg
    .private_segment_fixed_size: 0
    .sgpr_count:     79
    .sgpr_spill_count: 0
    .symbol:         fft_rtc_back_len1377_factors_17_3_9_3_wgs_51_tpt_51_halfLds_half_ip_CI_sbrr_dirReg.kd
    .uniform_work_group_size: 1
    .uses_dynamic_stack: false
    .vgpr_count:     116
    .vgpr_spill_count: 0
    .wavefront_size: 64
amdhsa.target:   amdgcn-amd-amdhsa--gfx906
amdhsa.version:
  - 1
  - 2
...

	.end_amdgpu_metadata
